;; amdgpu-corpus repo=ROCm/rocFFT kind=compiled arch=gfx1201 opt=O3
	.text
	.amdgcn_target "amdgcn-amd-amdhsa--gfx1201"
	.amdhsa_code_object_version 6
	.protected	bluestein_single_back_len3240_dim1_dp_op_CI_CI ; -- Begin function bluestein_single_back_len3240_dim1_dp_op_CI_CI
	.globl	bluestein_single_back_len3240_dim1_dp_op_CI_CI
	.p2align	8
	.type	bluestein_single_back_len3240_dim1_dp_op_CI_CI,@function
bluestein_single_back_len3240_dim1_dp_op_CI_CI: ; @bluestein_single_back_len3240_dim1_dp_op_CI_CI
; %bb.0:
	s_load_b128 s[16:19], s[0:1], 0x28
	v_mul_u32_u24_e32 v1, 0x25f, v0
	s_mov_b32 s2, exec_lo
	v_mov_b32_e32 v3, 0
	s_delay_alu instid0(VALU_DEP_2) | instskip(NEXT) | instid1(VALU_DEP_1)
	v_lshrrev_b32_e32 v1, 16, v1
	v_add_nc_u32_e32 v2, ttmp9, v1
	s_wait_kmcnt 0x0
	s_delay_alu instid0(VALU_DEP_1)
	v_cmpx_gt_u64_e64 s[16:17], v[2:3]
	s_cbranch_execz .LBB0_2
; %bb.1:
	s_clause 0x1
	s_load_b128 s[4:7], s[0:1], 0x18
	s_load_b128 s[8:11], s[0:1], 0x0
	v_mul_lo_u16 v1, 0x6c, v1
	s_mov_b32 s2, 0xffff7fc0
	s_mov_b32 s3, -1
	s_mov_b32 s22, 0x134454ff
	s_mov_b32 s23, 0x3fee6f0e
	v_sub_nc_u16 v172, v0, v1
	s_mov_b32 s25, 0xbfee6f0e
	s_mov_b32 s21, 0xbfe2cf23
	v_mov_b32_e32 v4, v2
	s_mov_b32 s24, s22
	v_and_b32_e32 v195, 0xffff, v172
	s_mov_b32 s29, 0xbfd3c6ef
	s_mov_b32 s26, 0x9b97f4a8
	scratch_store_b64 off, v[4:5], off      ; 8-byte Folded Spill
	s_mov_b32 s27, 0x3fe9e377
	s_mov_b32 s31, 0xbfe9e377
	;; [unrolled: 1-line block ×3, first 2 shown]
	s_load_b64 s[0:1], s[0:1], 0x38
	s_wait_kmcnt 0x0
	s_load_b128 s[12:15], s[4:5], 0x0
	v_lshlrev_b32_e32 v8, 4, v195
	global_load_b128 v[44:47], v8, s[8:9]
	s_wait_kmcnt 0x0
	v_mad_co_u64_u32 v[0:1], null, s14, v2, 0
	v_mad_co_u64_u32 v[2:3], null, s12, v195, 0
	s_mul_u64 s[4:5], s[12:13], 0x4380
	s_delay_alu instid0(VALU_DEP_1) | instskip(SKIP_1) | instid1(VALU_DEP_1)
	v_mad_co_u64_u32 v[4:5], null, s15, v4, v[1:2]
	s_mov_b32 s15, 0xbfebb67a
	v_mov_b32_e32 v1, v4
	s_delay_alu instid0(VALU_DEP_3) | instskip(SKIP_1) | instid1(VALU_DEP_2)
	v_mad_co_u64_u32 v[5:6], null, s13, v195, v[3:4]
	s_mul_u64 s[12:13], s[12:13], s[2:3]
	v_lshlrev_b64_e32 v[0:1], 4, v[0:1]
	s_delay_alu instid0(VALU_DEP_2) | instskip(NEXT) | instid1(VALU_DEP_2)
	v_mov_b32_e32 v3, v5
	v_add_co_u32 v0, vcc_lo, s18, v0
	s_delay_alu instid0(VALU_DEP_3)
	v_add_co_ci_u32_e32 v1, vcc_lo, s19, v1, vcc_lo
	s_mov_b32 s18, 0x372fe950
	s_mov_b32 s19, 0x3fd3c6ef
	s_wait_alu 0xfffe
	s_mov_b32 s28, s18
	s_wait_loadcnt 0x0
	v_dual_mov_b32 v105, v47 :: v_dual_mov_b32 v102, v44
	v_mov_b32_e32 v104, v46
	v_lshlrev_b64_e32 v[2:3], 4, v[2:3]
	s_delay_alu instid0(VALU_DEP_1) | instskip(SKIP_1) | instid1(VALU_DEP_2)
	v_add_co_u32 v0, vcc_lo, v0, v2
	s_wait_alu 0xfffd
	v_add_co_ci_u32_e32 v1, vcc_lo, v1, v3, vcc_lo
	s_delay_alu instid0(VALU_DEP_2) | instskip(SKIP_1) | instid1(VALU_DEP_2)
	v_add_co_u32 v4, vcc_lo, v0, s4
	s_wait_alu 0xfffd
	v_add_co_ci_u32_e32 v5, vcc_lo, s5, v1, vcc_lo
	global_load_b128 v[0:3], v[0:1], off
	v_add_co_u32 v9, vcc_lo, v4, s4
	s_wait_alu 0xfffd
	v_add_co_ci_u32_e32 v10, vcc_lo, s5, v5, vcc_lo
	global_load_b128 v[52:55], v8, s[8:9] offset:17280
	global_load_b128 v[4:7], v[4:5], off
	global_load_b128 v[66:69], v8, s[8:9] offset:34560
	global_load_b128 v[36:39], v[9:10], off
	v_mov_b32_e32 v103, v45
	v_add_co_u32 v9, vcc_lo, v9, s12
	s_wait_alu 0xfffd
	v_add_co_ci_u32_e32 v10, vcc_lo, s13, v10, vcc_lo
	global_load_b128 v[62:65], v8, s[8:9] offset:1728
	global_load_b128 v[20:23], v[9:10], off
	v_add_co_u32 v9, vcc_lo, v9, s4
	s_wait_alu 0xfffd
	v_add_co_ci_u32_e32 v10, vcc_lo, s5, v10, vcc_lo
	global_load_b128 v[78:81], v8, s[8:9] offset:19008
	global_load_b128 v[16:19], v[9:10], off
	;; [unrolled: 5-line block ×7, first 2 shown]
	v_add_co_u32 v9, vcc_lo, v9, s4
	global_load_b128 v[94:97], v8, s[8:9] offset:22464
	s_wait_alu 0xfffd
	v_add_co_ci_u32_e32 v10, vcc_lo, s5, v10, vcc_lo
	v_add_co_u32 v60, vcc_lo, v9, s4
	s_wait_alu 0xfffd
	s_delay_alu instid0(VALU_DEP_2)
	v_add_co_ci_u32_e32 v61, vcc_lo, s5, v10, vcc_lo
	s_wait_loadcnt 0x13
	v_mul_f64_e32 v[48:49], v[2:3], v[46:47]
	v_mul_f64_e32 v[50:51], v[0:1], v[46:47]
	s_wait_loadcnt 0x12
	v_dual_mov_b32 v44, v52 :: v_dual_mov_b32 v47, v55
	v_dual_mov_b32 v45, v53 :: v_dual_mov_b32 v46, v54
	s_wait_loadcnt 0x10
	v_dual_mov_b32 v101, v69 :: v_dual_mov_b32 v98, v66
	v_mov_b32_e32 v100, v68
	s_wait_loadcnt 0xf
	v_mul_f64_e32 v[56:57], v[38:39], v[68:69]
	v_mul_f64_e32 v[58:59], v[36:37], v[68:69]
	v_mov_b32_e32 v99, v67
	global_load_b128 v[66:69], v8, s[8:9] offset:39744
	v_dual_mov_b32 v109, v47 :: v_dual_mov_b32 v108, v46
	v_mul_f64_e32 v[52:53], v[6:7], v[46:47]
	v_mul_f64_e32 v[54:55], v[4:5], v[46:47]
	v_dual_mov_b32 v107, v45 :: v_dual_mov_b32 v106, v44
	global_load_b128 v[44:47], v[9:10], off
	s_wait_loadcnt 0x10
	scratch_store_b128 off, v[62:65], off offset:88 ; 16-byte Folded Spill
	s_wait_loadcnt 0xe
	scratch_store_b128 off, v[78:81], off offset:72 ; 16-byte Folded Spill
	v_mul_f64_e32 v[9:10], v[22:23], v[64:65]
	s_clause 0x1
	scratch_store_b128 off, v[106:109], off offset:120
	scratch_store_b128 off, v[98:101], off offset:104
	s_wait_loadcnt 0xc
	scratch_store_b128 off, v[74:77], off offset:56 ; 16-byte Folded Spill
	s_wait_loadcnt 0xa
	scratch_store_b128 off, v[70:73], off offset:40 ; 16-byte Folded Spill
	v_fma_f64 v[0:1], v[0:1], v[102:103], v[48:49]
	v_fma_f64 v[2:3], v[2:3], v[102:103], -v[50:51]
	global_load_b128 v[48:51], v[60:61], off
	s_wait_loadcnt 0x9
	scratch_store_b128 off, v[82:85], off offset:24 ; 16-byte Folded Spill
	s_wait_loadcnt 0x7
	scratch_store_b128 off, v[86:89], off offset:8 ; 16-byte Folded Spill
	v_fma_f64 v[36:37], v[36:37], v[98:99], v[56:57]
	v_add_co_u32 v56, vcc_lo, v60, s12
	v_fma_f64 v[38:39], v[38:39], v[98:99], -v[58:59]
	s_wait_alu 0xfffd
	v_add_co_ci_u32_e32 v57, vcc_lo, s13, v61, vcc_lo
	v_fma_f64 v[4:5], v[4:5], v[106:107], v[52:53]
	v_mul_f64_e32 v[52:53], v[20:21], v[64:65]
	v_fma_f64 v[6:7], v[6:7], v[106:107], -v[54:55]
	s_wait_loadcnt 0x5
	scratch_store_b128 off, v[90:93], off offset:136 ; 16-byte Folded Spill
	s_wait_loadcnt 0x3
	scratch_store_b128 off, v[94:97], off offset:152 ; 16-byte Folded Spill
	v_fma_f64 v[20:21], v[20:21], v[62:63], v[9:10]
	v_mul_f64_e32 v[9:10], v[18:19], v[80:81]
	v_fma_f64 v[22:23], v[22:23], v[62:63], -v[52:53]
	v_mul_f64_e32 v[52:53], v[16:17], v[80:81]
	global_load_b128 v[60:63], v8, s[8:9] offset:6912
	v_fma_f64 v[16:17], v[16:17], v[78:79], v[9:10]
	v_mul_f64_e32 v[9:10], v[14:15], v[76:77]
	v_fma_f64 v[18:19], v[18:19], v[78:79], -v[52:53]
	v_mul_f64_e32 v[52:53], v[12:13], v[76:77]
	s_delay_alu instid0(VALU_DEP_3) | instskip(NEXT) | instid1(VALU_DEP_2)
	v_fma_f64 v[9:10], v[12:13], v[74:75], v[9:10]
	v_fma_f64 v[11:12], v[14:15], v[74:75], -v[52:53]
	v_mul_f64_e32 v[52:53], v[24:25], v[72:73]
	v_mul_f64_e32 v[13:14], v[26:27], v[72:73]
	s_delay_alu instid0(VALU_DEP_2) | instskip(SKIP_1) | instid1(VALU_DEP_3)
	v_fma_f64 v[26:27], v[26:27], v[70:71], -v[52:53]
	v_mul_f64_e32 v[52:53], v[28:29], v[84:85]
	v_fma_f64 v[24:25], v[24:25], v[70:71], v[13:14]
	v_mul_f64_e32 v[13:14], v[30:31], v[84:85]
	s_delay_alu instid0(VALU_DEP_3) | instskip(SKIP_1) | instid1(VALU_DEP_3)
	v_fma_f64 v[30:31], v[30:31], v[82:83], -v[52:53]
	v_mul_f64_e32 v[52:53], v[32:33], v[88:89]
	v_fma_f64 v[28:29], v[28:29], v[82:83], v[13:14]
	v_mul_f64_e32 v[13:14], v[34:35], v[88:89]
	s_delay_alu instid0(VALU_DEP_3) | instskip(SKIP_1) | instid1(VALU_DEP_3)
	v_fma_f64 v[34:35], v[34:35], v[86:87], -v[52:53]
	v_mul_f64_e32 v[52:53], v[40:41], v[92:93]
	v_fma_f64 v[32:33], v[32:33], v[86:87], v[13:14]
	v_mul_f64_e32 v[13:14], v[42:43], v[92:93]
	s_delay_alu instid0(VALU_DEP_3) | instskip(NEXT) | instid1(VALU_DEP_2)
	v_fma_f64 v[42:43], v[42:43], v[90:91], -v[52:53]
	v_fma_f64 v[40:41], v[40:41], v[90:91], v[13:14]
	s_wait_loadcnt 0x3
	scratch_store_b128 off, v[66:69], off offset:168 ; 16-byte Folded Spill
	s_wait_loadcnt 0x2
	v_mul_f64_e32 v[52:53], v[44:45], v[96:97]
	v_mul_f64_e32 v[13:14], v[46:47], v[96:97]
	s_delay_alu instid0(VALU_DEP_2) | instskip(SKIP_2) | instid1(VALU_DEP_3)
	v_fma_f64 v[46:47], v[46:47], v[94:95], -v[52:53]
	s_wait_loadcnt 0x1
	v_mul_f64_e32 v[52:53], v[48:49], v[68:69]
	v_fma_f64 v[44:45], v[44:45], v[94:95], v[13:14]
	v_mul_f64_e32 v[13:14], v[50:51], v[68:69]
	global_load_b128 v[68:71], v8, s[8:9] offset:41472
	s_wait_loadcnt 0x1
	scratch_store_b128 off, v[60:63], off offset:184 ; 16-byte Folded Spill
	v_fma_f64 v[50:51], v[50:51], v[66:67], -v[52:53]
	global_load_b128 v[52:55], v[56:57], off
	v_fma_f64 v[48:49], v[48:49], v[66:67], v[13:14]
	global_load_b128 v[64:67], v8, s[8:9] offset:24192
	scratch_store_b128 off, v[102:105], off offset:200 ; 16-byte Folded Spill
	s_wait_loadcnt 0x2
	scratch_store_b128 off, v[68:71], off offset:232 ; 16-byte Folded Spill
	s_wait_loadcnt 0x1
	v_mul_f64_e32 v[13:14], v[54:55], v[62:63]
	v_mul_f64_e32 v[58:59], v[52:53], v[62:63]
	s_wait_loadcnt 0x0
	scratch_store_b128 off, v[64:67], off offset:216 ; 16-byte Folded Spill
	v_fma_f64 v[52:53], v[52:53], v[60:61], v[13:14]
	v_add_co_u32 v13, vcc_lo, v56, s4
	v_fma_f64 v[54:55], v[54:55], v[60:61], -v[58:59]
	s_wait_alu 0xfffd
	v_add_co_ci_u32_e32 v14, vcc_lo, s5, v57, vcc_lo
	global_load_b128 v[56:59], v[13:14], off
	v_add_co_u32 v13, vcc_lo, v13, s4
	s_wait_alu 0xfffd
	v_add_co_ci_u32_e32 v14, vcc_lo, s5, v14, vcc_lo
	s_wait_loadcnt 0x0
	v_mul_f64_e32 v[60:61], v[58:59], v[66:67]
	v_mul_f64_e32 v[62:63], v[56:57], v[66:67]
	s_delay_alu instid0(VALU_DEP_2) | instskip(NEXT) | instid1(VALU_DEP_2)
	v_fma_f64 v[56:57], v[56:57], v[64:65], v[60:61]
	v_fma_f64 v[58:59], v[58:59], v[64:65], -v[62:63]
	global_load_b128 v[60:63], v[13:14], off
	v_add_co_u32 v13, vcc_lo, v13, s12
	s_wait_alu 0xfffd
	v_add_co_ci_u32_e32 v14, vcc_lo, s13, v14, vcc_lo
	s_wait_loadcnt 0x0
	v_mul_f64_e32 v[64:65], v[62:63], v[70:71]
	v_mul_f64_e32 v[66:67], v[60:61], v[70:71]
	s_delay_alu instid0(VALU_DEP_2) | instskip(NEXT) | instid1(VALU_DEP_2)
	v_fma_f64 v[60:61], v[60:61], v[68:69], v[64:65]
	v_fma_f64 v[62:63], v[62:63], v[68:69], -v[66:67]
	global_load_b128 v[72:75], v8, s[8:9] offset:8640
	global_load_b128 v[64:67], v[13:14], off
	v_add_co_u32 v13, vcc_lo, v13, s4
	s_clause 0x2
	global_load_b128 v[76:79], v8, s[8:9] offset:25920
	global_load_b128 v[84:87], v8, s[8:9] offset:10368
	;; [unrolled: 1-line block ×3, first 2 shown]
	s_wait_alu 0xfffd
	v_add_co_ci_u32_e32 v14, vcc_lo, s5, v14, vcc_lo
	s_wait_loadcnt 0x4
	scratch_store_b128 off, v[72:75], off offset:248 ; 16-byte Folded Spill
	s_wait_loadcnt 0x3
	v_mul_f64_e32 v[68:69], v[66:67], v[74:75]
	v_mul_f64_e32 v[70:71], v[64:65], v[74:75]
	s_wait_loadcnt 0x2
	scratch_store_b128 off, v[76:79], off offset:264 ; 16-byte Folded Spill
	s_wait_loadcnt 0x1
	scratch_store_b128 off, v[84:87], off offset:296 ; 16-byte Folded Spill
	;; [unrolled: 2-line block ×3, first 2 shown]
	v_fma_f64 v[64:65], v[64:65], v[72:73], v[68:69]
	v_fma_f64 v[66:67], v[66:67], v[72:73], -v[70:71]
	global_load_b128 v[68:71], v[13:14], off
	v_add_co_u32 v13, vcc_lo, v13, s4
	s_wait_alu 0xfffd
	v_add_co_ci_u32_e32 v14, vcc_lo, s5, v14, vcc_lo
	s_wait_loadcnt 0x0
	v_mul_f64_e32 v[72:73], v[70:71], v[78:79]
	v_mul_f64_e32 v[74:75], v[68:69], v[78:79]
	s_delay_alu instid0(VALU_DEP_2) | instskip(NEXT) | instid1(VALU_DEP_2)
	v_fma_f64 v[68:69], v[68:69], v[76:77], v[72:73]
	v_fma_f64 v[70:71], v[70:71], v[76:77], -v[74:75]
	global_load_b128 v[72:75], v[13:14], off
	v_add_co_u32 v13, vcc_lo, v13, s12
	s_wait_alu 0xfffd
	v_add_co_ci_u32_e32 v14, vcc_lo, s13, v14, vcc_lo
	s_wait_loadcnt 0x0
	v_mul_f64_e32 v[76:77], v[74:75], v[82:83]
	v_mul_f64_e32 v[78:79], v[72:73], v[82:83]
	s_delay_alu instid0(VALU_DEP_2) | instskip(NEXT) | instid1(VALU_DEP_2)
	;; [unrolled: 10-line block ×3, first 2 shown]
	v_fma_f64 v[76:77], v[76:77], v[84:85], v[80:81]
	v_fma_f64 v[78:79], v[78:79], v[84:85], -v[82:83]
	global_load_b128 v[88:91], v8, s[8:9] offset:27648
	global_load_b128 v[80:83], v[13:14], off
	v_add_co_u32 v13, vcc_lo, v13, s4
	s_clause 0x5
	global_load_b128 v[92:95], v8, s[8:9] offset:44928
	global_load_b128 v[104:107], v8, s[8:9] offset:46656
	;; [unrolled: 1-line block ×6, first 2 shown]
	s_wait_alu 0xfffd
	v_add_co_ci_u32_e32 v14, vcc_lo, s5, v14, vcc_lo
	s_clause 0x2
	global_load_b128 v[112:115], v8, s[8:9] offset:31104
	global_load_b128 v[124:127], v8, s[8:9] offset:32832
	;; [unrolled: 1-line block ×3, first 2 shown]
	s_wait_loadcnt 0xa
	scratch_store_b128 off, v[88:91], off offset:344 ; 16-byte Folded Spill
	s_wait_loadcnt 0x9
	v_mul_f64_e32 v[84:85], v[82:83], v[90:91]
	v_mul_f64_e32 v[86:87], v[80:81], v[90:91]
	s_wait_loadcnt 0x8
	scratch_store_b128 off, v[92:95], off offset:312 ; 16-byte Folded Spill
	s_wait_loadcnt 0x7
	scratch_store_b128 off, v[104:107], off offset:376 ; 16-byte Folded Spill
	;; [unrolled: 2-line block ×9, first 2 shown]
	v_fma_f64 v[80:81], v[80:81], v[88:89], v[84:85]
	v_fma_f64 v[82:83], v[82:83], v[88:89], -v[86:87]
	global_load_b128 v[84:87], v[13:14], off
	v_add_co_u32 v13, vcc_lo, v13, s12
	s_wait_alu 0xfffd
	v_add_co_ci_u32_e32 v14, vcc_lo, s13, v14, vcc_lo
	s_wait_loadcnt 0x0
	v_mul_f64_e32 v[88:89], v[86:87], v[94:95]
	v_mul_f64_e32 v[90:91], v[84:85], v[94:95]
	s_delay_alu instid0(VALU_DEP_2) | instskip(NEXT) | instid1(VALU_DEP_2)
	v_fma_f64 v[84:85], v[84:85], v[92:93], v[88:89]
	v_fma_f64 v[86:87], v[86:87], v[92:93], -v[90:91]
	global_load_b128 v[88:91], v[13:14], off
	v_add_co_u32 v13, vcc_lo, v13, s4
	s_wait_alu 0xfffd
	v_add_co_ci_u32_e32 v14, vcc_lo, s5, v14, vcc_lo
	s_wait_loadcnt 0x0
	v_mul_f64_e32 v[92:93], v[90:91], v[98:99]
	v_mul_f64_e32 v[94:95], v[88:89], v[98:99]
	s_delay_alu instid0(VALU_DEP_2) | instskip(NEXT) | instid1(VALU_DEP_2)
	;; [unrolled: 10-line block ×6, first 2 shown]
	v_fma_f64 v[104:105], v[104:105], v[112:113], v[108:109]
	v_fma_f64 v[106:107], v[106:107], v[112:113], -v[110:111]
	global_load_b128 v[108:111], v[13:14], off
	v_add_co_u32 v13, vcc_lo, v13, s12
	s_wait_alu 0xfffd
	v_add_co_ci_u32_e32 v14, vcc_lo, s13, v14, vcc_lo
	s_mov_b32 s12, 0xe8584caa
	s_mov_b32 s13, 0x3febb67a
	s_wait_alu 0xfffe
	s_mov_b32 s14, s12
	s_wait_loadcnt 0x0
	v_mul_f64_e32 v[112:113], v[110:111], v[118:119]
	v_mul_f64_e32 v[114:115], v[108:109], v[118:119]
	s_delay_alu instid0(VALU_DEP_2) | instskip(NEXT) | instid1(VALU_DEP_2)
	v_fma_f64 v[108:109], v[108:109], v[116:117], v[112:113]
	v_fma_f64 v[110:111], v[110:111], v[116:117], -v[114:115]
	global_load_b128 v[112:115], v[13:14], off
	v_add_co_u32 v13, vcc_lo, v13, s4
	s_wait_alu 0xfffd
	v_add_co_ci_u32_e32 v14, vcc_lo, s5, v14, vcc_lo
	s_wait_loadcnt 0x0
	v_mul_f64_e32 v[116:117], v[114:115], v[122:123]
	v_mul_f64_e32 v[118:119], v[112:113], v[122:123]
	s_delay_alu instid0(VALU_DEP_2) | instskip(NEXT) | instid1(VALU_DEP_2)
	v_fma_f64 v[112:113], v[112:113], v[120:121], v[116:117]
	v_fma_f64 v[114:115], v[114:115], v[120:121], -v[118:119]
	global_load_b128 v[116:119], v[13:14], off
	v_add_co_u32 v13, vcc_lo, v13, s4
	s_wait_alu 0xfffd
	v_add_co_ci_u32_e32 v14, vcc_lo, s5, v14, vcc_lo
	v_cmp_gt_u16_e64 vcc_lo, 0x5a, v172
	s_wait_loadcnt 0x0
	v_mul_f64_e32 v[120:121], v[118:119], v[126:127]
	v_mul_f64_e32 v[122:123], v[116:117], v[126:127]
	s_delay_alu instid0(VALU_DEP_2) | instskip(NEXT) | instid1(VALU_DEP_2)
	v_fma_f64 v[116:117], v[116:117], v[124:125], v[120:121]
	v_fma_f64 v[118:119], v[118:119], v[124:125], -v[122:123]
	global_load_b128 v[120:123], v[13:14], off
	global_load_b128 v[126:129], v8, s[8:9] offset:50112
	s_wait_loadcnt 0x0
	v_mul_f64_e32 v[13:14], v[122:123], v[128:129]
	v_mul_f64_e32 v[124:125], v[120:121], v[128:129]
	scratch_store_b128 off, v[126:129], off offset:472 ; 16-byte Folded Spill
	v_fma_f64 v[120:121], v[120:121], v[126:127], v[13:14]
	v_fma_f64 v[122:123], v[122:123], v[126:127], -v[124:125]
	ds_store_b128 v8, v[0:3]
	ds_store_b128 v8, v[4:7] offset:17280
	ds_store_b128 v8, v[36:39] offset:34560
	;; [unrolled: 1-line block ×29, first 2 shown]
	s_load_b128 s[4:7], s[6:7], 0x0
	global_wb scope:SCOPE_SE
	s_wait_storecnt_dscnt 0x0
	s_wait_kmcnt 0x0
	s_barrier_signal -1
	s_barrier_wait -1
	global_inv scope:SCOPE_SE
	ds_load_b128 v[40:43], v8
	ds_load_b128 v[0:3], v8 offset:17280
	ds_load_b128 v[4:7], v8 offset:34560
	s_mul_u64 s[2:3], s[4:5], s[2:3]
	s_wait_dscnt 0x1
	v_add_f64_e32 v[9:10], v[40:41], v[0:1]
	v_add_f64_e32 v[11:12], v[42:43], v[2:3]
	s_wait_dscnt 0x0
	v_add_f64_e32 v[128:129], v[0:1], v[4:5]
	v_add_f64_e64 v[48:49], v[2:3], -v[6:7]
	v_add_f64_e32 v[130:131], v[2:3], v[6:7]
	v_add_f64_e64 v[50:51], v[0:1], -v[4:5]
	ds_load_b128 v[0:3], v8 offset:19008
	ds_load_b128 v[92:95], v8 offset:1728
	v_add_f64_e32 v[28:29], v[9:10], v[4:5]
	v_add_f64_e32 v[30:31], v[11:12], v[6:7]
	ds_load_b128 v[4:7], v8 offset:36288
	s_wait_dscnt 0x1
	v_add_f64_e32 v[9:10], v[92:93], v[0:1]
	v_add_f64_e32 v[11:12], v[94:95], v[2:3]
	s_wait_dscnt 0x0
	v_add_f64_e32 v[132:133], v[0:1], v[4:5]
	v_add_f64_e64 v[52:53], v[2:3], -v[6:7]
	v_add_f64_e32 v[134:135], v[2:3], v[6:7]
	v_add_f64_e64 v[54:55], v[0:1], -v[4:5]
	ds_load_b128 v[96:99], v8 offset:3456
	ds_load_b128 v[0:3], v8 offset:20736
	v_add_f64_e32 v[24:25], v[9:10], v[4:5]
	v_add_f64_e32 v[26:27], v[11:12], v[6:7]
	ds_load_b128 v[4:7], v8 offset:38016
	s_wait_dscnt 0x1
	v_add_f64_e32 v[9:10], v[96:97], v[0:1]
	v_add_f64_e32 v[11:12], v[98:99], v[2:3]
	v_fma_f64 v[92:93], v[132:133], -0.5, v[92:93]
	v_fma_f64 v[94:95], v[134:135], -0.5, v[94:95]
	s_wait_dscnt 0x0
	v_add_f64_e32 v[136:137], v[0:1], v[4:5]
	v_add_f64_e64 v[56:57], v[2:3], -v[6:7]
	v_add_f64_e32 v[138:139], v[2:3], v[6:7]
	v_add_f64_e64 v[58:59], v[0:1], -v[4:5]
	v_add_f64_e32 v[0:1], v[9:10], v[4:5]
	v_add_f64_e32 v[2:3], v[11:12], v[6:7]
	ds_load_b128 v[100:103], v8 offset:5184
	ds_load_b128 v[4:7], v8 offset:22464
	;; [unrolled: 1-line block ×3, first 2 shown]
	v_fma_f64 v[96:97], v[136:137], -0.5, v[96:97]
	v_fma_f64 v[98:99], v[138:139], -0.5, v[98:99]
	s_wait_dscnt 0x1
	v_add_f64_e32 v[13:14], v[100:101], v[4:5]
	v_add_f64_e32 v[15:16], v[102:103], v[6:7]
	s_wait_dscnt 0x0
	v_add_f64_e32 v[140:141], v[4:5], v[9:10]
	v_add_f64_e64 v[60:61], v[6:7], -v[11:12]
	v_add_f64_e32 v[142:143], v[6:7], v[11:12]
	v_add_f64_e64 v[62:63], v[4:5], -v[9:10]
	v_add_f64_e32 v[4:5], v[13:14], v[9:10]
	v_add_f64_e32 v[6:7], v[15:16], v[11:12]
	ds_load_b128 v[104:107], v8 offset:6912
	ds_load_b128 v[9:12], v8 offset:24192
	;; [unrolled: 1-line block ×3, first 2 shown]
	v_fma_f64 v[100:101], v[140:141], -0.5, v[100:101]
	v_fma_f64 v[102:103], v[142:143], -0.5, v[102:103]
	s_wait_dscnt 0x1
	v_add_f64_e32 v[17:18], v[104:105], v[9:10]
	v_add_f64_e32 v[19:20], v[106:107], v[11:12]
	s_wait_dscnt 0x0
	v_add_f64_e32 v[144:145], v[9:10], v[13:14]
	v_add_f64_e64 v[64:65], v[11:12], -v[15:16]
	v_add_f64_e32 v[146:147], v[11:12], v[15:16]
	v_add_f64_e64 v[66:67], v[9:10], -v[13:14]
	ds_load_b128 v[108:111], v8 offset:8640
	ds_load_b128 v[9:12], v8 offset:25920
	v_add_f64_e32 v[88:89], v[17:18], v[13:14]
	v_add_f64_e32 v[90:91], v[19:20], v[15:16]
	s_wait_dscnt 0x0
	v_add_f64_e32 v[17:18], v[108:109], v[9:10]
	v_add_f64_e32 v[19:20], v[110:111], v[11:12]
	ds_load_b128 v[13:16], v8 offset:43200
	v_fma_f64 v[104:105], v[144:145], -0.5, v[104:105]
	v_fma_f64 v[106:107], v[146:147], -0.5, v[106:107]
	s_wait_dscnt 0x0
	v_add_f64_e32 v[148:149], v[9:10], v[13:14]
	v_add_f64_e64 v[68:69], v[11:12], -v[15:16]
	v_add_f64_e32 v[150:151], v[11:12], v[15:16]
	v_add_f64_e64 v[70:71], v[9:10], -v[13:14]
	v_add_f64_e32 v[12:13], v[17:18], v[13:14]
	v_add_f64_e32 v[14:15], v[19:20], v[15:16]
	ds_load_b128 v[112:115], v8 offset:10368
	ds_load_b128 v[16:19], v8 offset:27648
	;; [unrolled: 1-line block ×3, first 2 shown]
	s_wait_dscnt 0x1
	v_add_f64_e32 v[9:10], v[112:113], v[16:17]
	v_add_f64_e32 v[32:33], v[114:115], v[18:19]
	s_wait_dscnt 0x0
	v_add_f64_e32 v[152:153], v[16:17], v[20:21]
	v_add_f64_e64 v[72:73], v[18:19], -v[22:23]
	v_add_f64_e32 v[154:155], v[18:19], v[22:23]
	v_add_f64_e64 v[74:75], v[16:17], -v[20:21]
	v_fma_f64 v[108:109], v[148:149], -0.5, v[108:109]
	v_fma_f64 v[110:111], v[150:151], -0.5, v[110:111]
	v_add_f64_e32 v[16:17], v[9:10], v[20:21]
	v_add_f64_e32 v[18:19], v[32:33], v[22:23]
	ds_load_b128 v[20:23], v8 offset:29376
	ds_load_b128 v[116:119], v8 offset:12096
	;; [unrolled: 1-line block ×3, first 2 shown]
	v_fma_f64 v[112:113], v[152:153], -0.5, v[112:113]
	v_fma_f64 v[114:115], v[154:155], -0.5, v[114:115]
	v_add_co_u32 v155, null, 0x6c, v195
	v_add_co_u32 v154, null, 0x144, v195
	;; [unrolled: 1-line block ×3, first 2 shown]
	s_wait_dscnt 0x1
	v_add_f64_e32 v[9:10], v[116:117], v[20:21]
	v_add_f64_e32 v[36:37], v[118:119], v[22:23]
	s_wait_dscnt 0x0
	v_add_f64_e32 v[156:157], v[20:21], v[32:33]
	v_add_f64_e64 v[76:77], v[22:23], -v[34:35]
	v_add_f64_e32 v[158:159], v[22:23], v[34:35]
	v_add_f64_e64 v[78:79], v[20:21], -v[32:33]
	v_add_f64_e32 v[20:21], v[9:10], v[32:33]
	v_add_f64_e32 v[22:23], v[36:37], v[34:35]
	ds_load_b128 v[120:123], v8 offset:13824
	ds_load_b128 v[32:35], v8 offset:31104
	;; [unrolled: 1-line block ×3, first 2 shown]
	v_fma_f64 v[116:117], v[156:157], -0.5, v[116:117]
	v_fma_f64 v[118:119], v[158:159], -0.5, v[118:119]
	v_add_co_u32 v156, null, 0xd8, v195
	v_and_b32_e32 v158, 0xffff, v154
	v_and_b32_e32 v157, 0xffff, v153
	s_delay_alu instid0(VALU_DEP_3)
	v_and_b32_e32 v159, 0xffff, v156
	s_wait_dscnt 0x1
	v_add_f64_e32 v[9:10], v[120:121], v[32:33]
	v_add_f64_e32 v[44:45], v[122:123], v[34:35]
	s_wait_dscnt 0x0
	v_add_f64_e32 v[160:161], v[32:33], v[36:37]
	v_add_f64_e64 v[80:81], v[34:35], -v[38:39]
	v_add_f64_e32 v[162:163], v[34:35], v[38:39]
	v_add_f64_e64 v[82:83], v[32:33], -v[36:37]
	v_add_f64_e32 v[32:33], v[9:10], v[36:37]
	v_add_f64_e32 v[34:35], v[44:45], v[38:39]
	ds_load_b128 v[44:47], v8 offset:15552
	ds_load_b128 v[36:39], v8 offset:32832
	;; [unrolled: 1-line block ×3, first 2 shown]
	v_fma_f64 v[120:121], v[160:161], -0.5, v[120:121]
	v_fma_f64 v[122:123], v[162:163], -0.5, v[122:123]
	v_and_b32_e32 v160, 0xff, v155
	s_wait_dscnt 0x1
	v_add_f64_e32 v[9:10], v[44:45], v[36:37]
	s_wait_dscnt 0x0
	v_add_f64_e32 v[166:167], v[36:37], v[124:125]
	v_add_f64_e64 v[86:87], v[36:37], -v[124:125]
	v_add_f64_e32 v[164:165], v[46:47], v[38:39]
	v_add_f64_e32 v[168:169], v[38:39], v[126:127]
	v_add_f64_e64 v[84:85], v[38:39], -v[126:127]
	v_add_f64_e32 v[36:37], v[9:10], v[124:125]
	v_fma_f64 v[9:10], v[128:129], -0.5, v[40:41]
	v_fma_f64 v[124:125], v[130:131], -0.5, v[42:43]
	v_add_f64_e32 v[38:39], v[164:165], v[126:127]
	v_fma_f64 v[126:127], v[166:167], -0.5, v[44:45]
	v_fma_f64 v[128:129], v[168:169], -0.5, v[46:47]
	v_fma_f64 v[40:41], v[48:49], s[12:13], v[9:10]
	v_fma_f64 v[42:43], v[50:51], s[14:15], v[124:125]
	;; [unrolled: 1-line block ×12, first 2 shown]
	v_mul_lo_u16 v9, v172, 3
	v_fma_f64 v[96:97], v[60:61], s[12:13], v[100:101]
	v_fma_f64 v[98:99], v[62:63], s[14:15], v[102:103]
	v_fma_f64 v[60:61], v[60:61], s[14:15], v[100:101]
	v_fma_f64 v[62:63], v[62:63], s[12:13], v[102:103]
	v_and_b32_e32 v9, 0xffff, v9
	v_fma_f64 v[100:101], v[64:65], s[12:13], v[104:105]
	v_fma_f64 v[102:103], v[66:67], s[14:15], v[106:107]
	;; [unrolled: 1-line block ×4, first 2 shown]
	v_lshlrev_b32_e32 v9, 4, v9
	v_fma_f64 v[104:105], v[68:69], s[12:13], v[108:109]
	v_fma_f64 v[106:107], v[70:71], s[14:15], v[110:111]
	;; [unrolled: 1-line block ×4, first 2 shown]
	scratch_store_b32 off, v9, off offset:828 ; 4-byte Folded Spill
	global_wb scope:SCOPE_SE
	s_wait_storecnt 0x0
	s_barrier_signal -1
	s_barrier_wait -1
	global_inv scope:SCOPE_SE
	ds_store_b128 v9, v[28:31]
	ds_store_b128 v9, v[40:43] offset:16
	ds_store_b128 v9, v[44:47] offset:32
	v_mul_u32_u24_e32 v9, 3, v155
	v_fma_f64 v[108:109], v[72:73], s[12:13], v[112:113]
	v_fma_f64 v[110:111], v[74:75], s[14:15], v[114:115]
	;; [unrolled: 1-line block ×4, first 2 shown]
	v_lshlrev_b32_e32 v9, 4, v9
	ds_store_b128 v9, v[24:27]
	ds_store_b128 v9, v[48:51] offset:16
	scratch_store_b32 off, v9, off offset:940 ; 4-byte Folded Spill
	ds_store_b128 v9, v[52:55] offset:32
	v_mul_u32_u24_e32 v9, 3, v156
	v_fma_f64 v[112:113], v[76:77], s[12:13], v[116:117]
	v_fma_f64 v[114:115], v[78:79], s[14:15], v[118:119]
	;; [unrolled: 1-line block ×4, first 2 shown]
	v_lshlrev_b32_e32 v9, 4, v9
	v_add_co_u32 v24, null, 0x21c, v195
	v_fma_f64 v[116:117], v[80:81], s[12:13], v[120:121]
	v_fma_f64 v[118:119], v[82:83], s[14:15], v[122:123]
	scratch_store_b32 off, v9, off offset:928 ; 4-byte Folded Spill
	ds_store_b128 v9, v[0:3]
	ds_store_b128 v9, v[92:95] offset:16
	ds_store_b128 v9, v[56:59] offset:32
	v_mul_u32_u24_e32 v0, 3, v154
	v_fma_f64 v[80:81], v[80:81], s[14:15], v[120:121]
	v_fma_f64 v[82:83], v[82:83], s[12:13], v[122:123]
	v_add_co_u32 v25, null, 0x288, v195
	s_delay_alu instid0(VALU_DEP_4)
	v_lshlrev_b32_e32 v0, 4, v0
	v_add_co_u32 v46, null, 0x2f4, v195
	v_fma_f64 v[120:121], v[84:85], s[12:13], v[126:127]
	v_fma_f64 v[122:123], v[86:87], s[14:15], v[128:129]
	scratch_store_b32 off, v0, off offset:904 ; 4-byte Folded Spill
	ds_store_b128 v0, v[4:7]
	ds_store_b128 v0, v[96:99] offset:16
	ds_store_b128 v0, v[60:63] offset:32
	v_mul_u32_u24_e32 v0, 3, v153
	v_fma_f64 v[84:85], v[84:85], s[14:15], v[126:127]
	v_fma_f64 v[86:87], v[86:87], s[12:13], v[128:129]
	v_add_co_u32 v47, null, 0x360, v195
	s_delay_alu instid0(VALU_DEP_4)
	v_lshlrev_b32_e32 v0, 4, v0
	v_and_b32_e32 v4, 0xff, v172
	scratch_store_b32 off, v0, off offset:848 ; 4-byte Folded Spill
	ds_store_b128 v0, v[88:91]
	ds_store_b128 v0, v[100:103] offset:16
	ds_store_b128 v0, v[64:67] offset:32
	v_mul_u32_u24_e32 v0, 3, v24
	s_delay_alu instid0(VALU_DEP_1)
	v_lshlrev_b32_e32 v0, 4, v0
	scratch_store_b32 off, v0, off offset:836 ; 4-byte Folded Spill
	ds_store_b128 v0, v[12:15]
	ds_store_b128 v0, v[104:107] offset:16
	ds_store_b128 v0, v[68:71] offset:32
	v_mul_u32_u24_e32 v0, 3, v25
	s_delay_alu instid0(VALU_DEP_1)
	v_lshlrev_b32_e32 v0, 4, v0
	;; [unrolled: 7-line block ×4, first 2 shown]
	scratch_store_b32 off, v0, off offset:752 ; 4-byte Folded Spill
	ds_store_b128 v0, v[32:35]
	ds_store_b128 v0, v[116:119] offset:16
	ds_store_b128 v0, v[80:83] offset:32
	v_add_co_u32 v34, null, 0x3cc, v195
	s_delay_alu instid0(VALU_DEP_1) | instskip(NEXT) | instid1(VALU_DEP_1)
	v_mul_u32_u24_e32 v0, 3, v34
	v_lshlrev_b32_e32 v0, 4, v0
	scratch_store_b32 off, v0, off offset:748 ; 4-byte Folded Spill
	ds_store_b128 v0, v[36:39]
	ds_store_b128 v0, v[120:123] offset:16
	ds_store_b128 v0, v[84:87] offset:32
	v_mul_lo_u16 v0, 0xab, v4
	global_wb scope:SCOPE_SE
	s_wait_storecnt_dscnt 0x0
	s_barrier_signal -1
	s_barrier_wait -1
	global_inv scope:SCOPE_SE
	v_lshrrev_b16 v7, 9, v0
	s_delay_alu instid0(VALU_DEP_1) | instskip(SKIP_1) | instid1(VALU_DEP_2)
	v_mul_lo_u16 v0, v7, 3
	v_and_b32_e32 v7, 0xffff, v7
	v_sub_nc_u16 v0, v172, v0
	s_delay_alu instid0(VALU_DEP_2) | instskip(NEXT) | instid1(VALU_DEP_2)
	v_mul_u32_u24_e32 v7, 9, v7
	v_and_b32_e32 v9, 0xff, v0
	ds_load_b128 v[0:3], v8 offset:17280
	v_lshlrev_b32_e32 v10, 5, v9
	v_add_lshl_u32 v7, v7, v9, 4
	global_load_b128 v[11:14], v10, s[10:11]
	scratch_store_b32 off, v7, off offset:992 ; 4-byte Folded Spill
	s_wait_loadcnt_dscnt 0x0
	v_mul_f64_e32 v[5:6], v[2:3], v[13:14]
	scratch_store_b128 off, v[11:14], off offset:492 ; 16-byte Folded Spill
	v_fma_f64 v[30:31], v[0:1], v[11:12], -v[5:6]
	v_mul_f64_e32 v[0:1], v[0:1], v[13:14]
	s_delay_alu instid0(VALU_DEP_1)
	v_fma_f64 v[26:27], v[2:3], v[11:12], v[0:1]
	global_load_b128 v[10:13], v10, s[10:11] offset:16
	ds_load_b128 v[0:3], v8 offset:34560
	s_wait_loadcnt_dscnt 0x0
	v_mul_f64_e32 v[5:6], v[2:3], v[12:13]
	scratch_store_b128 off, v[10:13], off offset:508 ; 16-byte Folded Spill
	v_fma_f64 v[32:33], v[0:1], v[10:11], -v[5:6]
	v_mul_f64_e32 v[0:1], v[0:1], v[12:13]
	s_delay_alu instid0(VALU_DEP_1) | instskip(SKIP_1) | instid1(VALU_DEP_1)
	v_fma_f64 v[28:29], v[2:3], v[10:11], v[0:1]
	v_mul_lo_u16 v0, 0xab, v160
	v_lshrrev_b16 v10, 9, v0
	s_delay_alu instid0(VALU_DEP_1) | instskip(NEXT) | instid1(VALU_DEP_1)
	v_mul_lo_u16 v0, v10, 3
	v_sub_nc_u16 v0, v155, v0
	s_delay_alu instid0(VALU_DEP_1)
	v_and_b32_e32 v11, 0xff, v0
	ds_load_b128 v[0:3], v8 offset:19008
	v_lshlrev_b32_e32 v12, 5, v11
	global_load_b128 v[13:16], v12, s[10:11]
	s_wait_loadcnt_dscnt 0x0
	v_mul_f64_e32 v[5:6], v[2:3], v[15:16]
	scratch_store_b128 off, v[13:16], off offset:524 ; 16-byte Folded Spill
	v_fma_f64 v[42:43], v[0:1], v[13:14], -v[5:6]
	v_mul_f64_e32 v[0:1], v[0:1], v[15:16]
	s_delay_alu instid0(VALU_DEP_1)
	v_fma_f64 v[38:39], v[2:3], v[13:14], v[0:1]
	global_load_b128 v[12:15], v12, s[10:11] offset:16
	ds_load_b128 v[0:3], v8 offset:36288
	s_wait_loadcnt_dscnt 0x0
	v_mul_f64_e32 v[5:6], v[2:3], v[14:15]
	scratch_store_b128 off, v[12:15], off offset:540 ; 16-byte Folded Spill
	v_fma_f64 v[44:45], v[0:1], v[12:13], -v[5:6]
	v_mul_f64_e32 v[0:1], v[0:1], v[14:15]
	s_delay_alu instid0(VALU_DEP_1) | instskip(SKIP_1) | instid1(VALU_DEP_1)
	v_fma_f64 v[40:41], v[2:3], v[12:13], v[0:1]
	v_mul_u32_u24_e32 v0, 0xaaab, v159
	v_lshrrev_b32_e32 v12, 17, v0
	s_delay_alu instid0(VALU_DEP_1) | instskip(NEXT) | instid1(VALU_DEP_1)
	v_mul_lo_u16 v0, v12, 3
	v_sub_nc_u16 v13, v156, v0
	s_delay_alu instid0(VALU_DEP_1) | instskip(NEXT) | instid1(VALU_DEP_1)
	v_lshlrev_b16 v0, 1, v13
	v_and_b32_e32 v0, 0xffff, v0
	s_delay_alu instid0(VALU_DEP_1)
	v_lshlrev_b32_e32 v14, 4, v0
	ds_load_b128 v[0:3], v8 offset:20736
	global_load_b128 v[15:18], v14, s[10:11]
	s_wait_loadcnt_dscnt 0x0
	v_mul_f64_e32 v[5:6], v[2:3], v[17:18]
	scratch_store_b128 off, v[15:18], off offset:556 ; 16-byte Folded Spill
	v_fma_f64 v[54:55], v[0:1], v[15:16], -v[5:6]
	v_mul_f64_e32 v[0:1], v[0:1], v[17:18]
	s_delay_alu instid0(VALU_DEP_1)
	v_fma_f64 v[50:51], v[2:3], v[15:16], v[0:1]
	global_load_b128 v[14:17], v14, s[10:11] offset:16
	ds_load_b128 v[0:3], v8 offset:38016
	s_wait_loadcnt_dscnt 0x0
	v_mul_f64_e32 v[5:6], v[2:3], v[16:17]
	scratch_store_b128 off, v[14:17], off offset:572 ; 16-byte Folded Spill
	v_fma_f64 v[56:57], v[0:1], v[14:15], -v[5:6]
	v_mul_f64_e32 v[0:1], v[0:1], v[16:17]
	s_delay_alu instid0(VALU_DEP_1) | instskip(SKIP_1) | instid1(VALU_DEP_1)
	v_fma_f64 v[52:53], v[2:3], v[14:15], v[0:1]
	v_mul_u32_u24_e32 v0, 0xaaab, v158
	v_lshrrev_b32_e32 v14, 17, v0
	s_delay_alu instid0(VALU_DEP_1) | instskip(NEXT) | instid1(VALU_DEP_1)
	v_mul_lo_u16 v0, v14, 3
	v_sub_nc_u16 v15, v154, v0
	s_delay_alu instid0(VALU_DEP_1) | instskip(NEXT) | instid1(VALU_DEP_1)
	v_lshlrev_b16 v0, 1, v15
	v_and_b32_e32 v0, 0xffff, v0
	s_delay_alu instid0(VALU_DEP_1)
	v_lshlrev_b32_e32 v16, 4, v0
	ds_load_b128 v[0:3], v8 offset:22464
	global_load_b128 v[17:20], v16, s[10:11]
	v_add_f64_e64 v[70:71], v[50:51], -v[52:53]
	s_wait_loadcnt_dscnt 0x0
	v_mul_f64_e32 v[5:6], v[2:3], v[19:20]
	scratch_store_b128 off, v[17:20], off offset:588 ; 16-byte Folded Spill
	v_fma_f64 v[66:67], v[0:1], v[17:18], -v[5:6]
	v_mul_f64_e32 v[0:1], v[0:1], v[19:20]
	s_delay_alu instid0(VALU_DEP_1)
	v_fma_f64 v[62:63], v[2:3], v[17:18], v[0:1]
	global_load_b128 v[16:19], v16, s[10:11] offset:16
	ds_load_b128 v[0:3], v8 offset:39744
	s_wait_loadcnt_dscnt 0x0
	v_mul_f64_e32 v[5:6], v[2:3], v[18:19]
	scratch_store_b128 off, v[16:19], off offset:604 ; 16-byte Folded Spill
	v_fma_f64 v[68:69], v[0:1], v[16:17], -v[5:6]
	v_mul_f64_e32 v[0:1], v[0:1], v[18:19]
	s_delay_alu instid0(VALU_DEP_1) | instskip(SKIP_1) | instid1(VALU_DEP_1)
	v_fma_f64 v[64:65], v[2:3], v[16:17], v[0:1]
	v_mul_u32_u24_e32 v0, 0xaaab, v157
	v_lshrrev_b32_e32 v16, 17, v0
	s_delay_alu instid0(VALU_DEP_1) | instskip(NEXT) | instid1(VALU_DEP_1)
	v_mul_lo_u16 v0, v16, 3
	v_sub_nc_u16 v17, v153, v0
	s_delay_alu instid0(VALU_DEP_1) | instskip(NEXT) | instid1(VALU_DEP_1)
	v_lshlrev_b16 v0, 1, v17
	v_and_b32_e32 v0, 0xffff, v0
	s_delay_alu instid0(VALU_DEP_1)
	v_lshlrev_b32_e32 v18, 4, v0
	ds_load_b128 v[0:3], v8 offset:24192
	global_load_b128 v[19:22], v18, s[10:11]
	v_add_f64_e32 v[72:73], v[62:63], v[64:65]
	v_add_f64_e64 v[82:83], v[62:63], -v[64:65]
	s_wait_loadcnt_dscnt 0x0
	v_mul_f64_e32 v[5:6], v[2:3], v[21:22]
	scratch_store_b128 off, v[19:22], off offset:620 ; 16-byte Folded Spill
	v_fma_f64 v[78:79], v[0:1], v[19:20], -v[5:6]
	v_mul_f64_e32 v[0:1], v[0:1], v[21:22]
	s_delay_alu instid0(VALU_DEP_1)
	v_fma_f64 v[74:75], v[2:3], v[19:20], v[0:1]
	global_load_b128 v[18:21], v18, s[10:11] offset:16
	ds_load_b128 v[0:3], v8 offset:41472
	s_wait_loadcnt_dscnt 0x0
	v_mul_f64_e32 v[5:6], v[2:3], v[20:21]
	scratch_store_b128 off, v[18:21], off offset:636 ; 16-byte Folded Spill
	v_fma_f64 v[80:81], v[0:1], v[18:19], -v[5:6]
	v_mul_f64_e32 v[0:1], v[0:1], v[20:21]
	s_delay_alu instid0(VALU_DEP_1) | instskip(SKIP_1) | instid1(VALU_DEP_1)
	v_fma_f64 v[76:77], v[2:3], v[18:19], v[0:1]
	v_and_b32_e32 v0, 0xffff, v24
	v_mul_u32_u24_e32 v0, 0xaaab, v0
	s_delay_alu instid0(VALU_DEP_1) | instskip(NEXT) | instid1(VALU_DEP_1)
	v_lshrrev_b32_e32 v18, 17, v0
	v_mul_lo_u16 v0, v18, 3
	s_delay_alu instid0(VALU_DEP_1) | instskip(NEXT) | instid1(VALU_DEP_1)
	v_sub_nc_u16 v19, v24, v0
	v_lshlrev_b16 v0, 1, v19
	s_delay_alu instid0(VALU_DEP_1) | instskip(NEXT) | instid1(VALU_DEP_1)
	v_and_b32_e32 v0, 0xffff, v0
	v_lshlrev_b32_e32 v20, 4, v0
	ds_load_b128 v[0:3], v8 offset:25920
	v_add_f64_e32 v[84:85], v[74:75], v[76:77]
	v_add_f64_e64 v[94:95], v[74:75], -v[76:77]
	global_load_b128 v[21:24], v20, s[10:11]
	s_wait_loadcnt_dscnt 0x0
	v_mul_f64_e32 v[5:6], v[2:3], v[23:24]
	scratch_store_b128 off, v[21:24], off offset:652 ; 16-byte Folded Spill
	v_fma_f64 v[90:91], v[0:1], v[21:22], -v[5:6]
	v_mul_f64_e32 v[0:1], v[0:1], v[23:24]
	s_delay_alu instid0(VALU_DEP_1)
	v_fma_f64 v[86:87], v[2:3], v[21:22], v[0:1]
	global_load_b128 v[20:23], v20, s[10:11] offset:16
	ds_load_b128 v[0:3], v8 offset:43200
	s_wait_loadcnt_dscnt 0x0
	v_mul_f64_e32 v[5:6], v[2:3], v[22:23]
	scratch_store_b128 off, v[20:23], off offset:668 ; 16-byte Folded Spill
	v_fma_f64 v[92:93], v[0:1], v[20:21], -v[5:6]
	v_mul_f64_e32 v[0:1], v[0:1], v[22:23]
	s_delay_alu instid0(VALU_DEP_1) | instskip(SKIP_1) | instid1(VALU_DEP_1)
	v_fma_f64 v[88:89], v[2:3], v[20:21], v[0:1]
	v_and_b32_e32 v0, 0xffff, v25
	v_mul_u32_u24_e32 v0, 0xaaab, v0
	s_delay_alu instid0(VALU_DEP_1) | instskip(NEXT) | instid1(VALU_DEP_1)
	v_lshrrev_b32_e32 v20, 17, v0
	v_mul_lo_u16 v0, v20, 3
	s_delay_alu instid0(VALU_DEP_1) | instskip(NEXT) | instid1(VALU_DEP_1)
	v_sub_nc_u16 v21, v25, v0
	v_lshlrev_b16 v0, 1, v21
	s_delay_alu instid0(VALU_DEP_1) | instskip(NEXT) | instid1(VALU_DEP_1)
	v_and_b32_e32 v0, 0xffff, v0
	v_lshlrev_b32_e32 v22, 4, v0
	ds_load_b128 v[0:3], v8 offset:27648
	v_add_f64_e32 v[96:97], v[86:87], v[88:89]
	v_add_f64_e64 v[106:107], v[86:87], -v[88:89]
	s_clause 0x1
	global_load_b128 v[58:61], v22, s[10:11]
	global_load_b128 v[22:25], v22, s[10:11] offset:16
	s_wait_loadcnt_dscnt 0x100
	v_mul_f64_e32 v[5:6], v[2:3], v[60:61]
	scratch_store_b128 off, v[58:61], off offset:684 ; 16-byte Folded Spill
	s_wait_loadcnt 0x0
	scratch_store_b128 off, v[22:25], off offset:700 ; 16-byte Folded Spill
	v_fma_f64 v[102:103], v[0:1], v[58:59], -v[5:6]
	v_mul_f64_e32 v[0:1], v[0:1], v[60:61]
	s_delay_alu instid0(VALU_DEP_1) | instskip(SKIP_3) | instid1(VALU_DEP_1)
	v_fma_f64 v[98:99], v[2:3], v[58:59], v[0:1]
	ds_load_b128 v[0:3], v8 offset:44928
	s_wait_dscnt 0x0
	v_mul_f64_e32 v[5:6], v[2:3], v[24:25]
	v_fma_f64 v[104:105], v[0:1], v[22:23], -v[5:6]
	v_mul_f64_e32 v[0:1], v[0:1], v[24:25]
	s_delay_alu instid0(VALU_DEP_1) | instskip(SKIP_1) | instid1(VALU_DEP_1)
	v_fma_f64 v[100:101], v[2:3], v[22:23], v[0:1]
	v_and_b32_e32 v0, 0xffff, v46
	v_mul_u32_u24_e32 v0, 0xaaab, v0
	s_delay_alu instid0(VALU_DEP_1) | instskip(NEXT) | instid1(VALU_DEP_1)
	v_lshrrev_b32_e32 v22, 17, v0
	v_mul_lo_u16 v0, v22, 3
	s_delay_alu instid0(VALU_DEP_1) | instskip(NEXT) | instid1(VALU_DEP_1)
	v_sub_nc_u16 v23, v46, v0
	v_lshlrev_b16 v0, 1, v23
	s_delay_alu instid0(VALU_DEP_1) | instskip(NEXT) | instid1(VALU_DEP_1)
	v_and_b32_e32 v0, 0xffff, v0
	v_lshlrev_b32_e32 v24, 4, v0
	ds_load_b128 v[0:3], v8 offset:29376
	v_add_f64_e32 v[108:109], v[98:99], v[100:101]
	v_add_f64_e64 v[118:119], v[98:99], -v[100:101]
	global_load_b128 v[58:61], v24, s[10:11]
	s_wait_loadcnt_dscnt 0x0
	v_mul_f64_e32 v[5:6], v[2:3], v[60:61]
	scratch_store_b128 off, v[58:61], off offset:716 ; 16-byte Folded Spill
	v_fma_f64 v[114:115], v[0:1], v[58:59], -v[5:6]
	v_mul_f64_e32 v[0:1], v[0:1], v[60:61]
	s_delay_alu instid0(VALU_DEP_1) | instskip(SKIP_4) | instid1(VALU_DEP_1)
	v_fma_f64 v[110:111], v[2:3], v[58:59], v[0:1]
	global_load_b128 v[58:61], v24, s[10:11] offset:16
	ds_load_b128 v[0:3], v8 offset:46656
	s_wait_loadcnt_dscnt 0x0
	v_mul_f64_e32 v[5:6], v[2:3], v[60:61]
	v_fma_f64 v[116:117], v[0:1], v[58:59], -v[5:6]
	v_mul_f64_e32 v[0:1], v[0:1], v[60:61]
	s_delay_alu instid0(VALU_DEP_1) | instskip(SKIP_1) | instid1(VALU_DEP_1)
	v_fma_f64 v[112:113], v[2:3], v[58:59], v[0:1]
	v_and_b32_e32 v0, 0xffff, v47
	v_mul_u32_u24_e32 v0, 0xaaab, v0
	s_delay_alu instid0(VALU_DEP_1) | instskip(NEXT) | instid1(VALU_DEP_1)
	v_lshrrev_b32_e32 v24, 17, v0
	v_mul_lo_u16 v0, v24, 3
	s_delay_alu instid0(VALU_DEP_1) | instskip(NEXT) | instid1(VALU_DEP_1)
	v_sub_nc_u16 v25, v47, v0
	v_lshlrev_b16 v0, 1, v25
	s_delay_alu instid0(VALU_DEP_1) | instskip(NEXT) | instid1(VALU_DEP_1)
	v_and_b32_e32 v0, 0xffff, v0
	v_lshlrev_b32_e32 v35, 4, v0
	ds_load_b128 v[0:3], v8 offset:31104
	v_add_f64_e32 v[120:121], v[110:111], v[112:113]
	v_add_f64_e64 v[130:131], v[110:111], -v[112:113]
	global_load_b128 v[46:49], v35, s[10:11]
	scratch_store_b128 off, v[58:61], off offset:732 ; 16-byte Folded Spill
	v_add_f64_e64 v[58:59], v[38:39], -v[40:41]
	v_add_f64_e32 v[60:61], v[50:51], v[52:53]
	s_wait_loadcnt 0x0
	scratch_store_b128 off, v[46:49], off offset:756 ; 16-byte Folded Spill
	s_wait_dscnt 0x0
	v_mul_f64_e32 v[5:6], v[2:3], v[48:49]
	s_delay_alu instid0(VALU_DEP_1) | instskip(SKIP_1) | instid1(VALU_DEP_1)
	v_fma_f64 v[126:127], v[0:1], v[46:47], -v[5:6]
	v_mul_f64_e32 v[0:1], v[0:1], v[48:49]
	v_fma_f64 v[122:123], v[2:3], v[46:47], v[0:1]
	global_load_b128 v[46:49], v35, s[10:11] offset:16
	ds_load_b128 v[0:3], v8 offset:48384
	s_wait_loadcnt_dscnt 0x0
	v_mul_f64_e32 v[5:6], v[2:3], v[48:49]
	scratch_store_b128 off, v[46:49], off offset:772 ; 16-byte Folded Spill
	v_fma_f64 v[128:129], v[0:1], v[46:47], -v[5:6]
	v_mul_f64_e32 v[0:1], v[0:1], v[48:49]
	s_delay_alu instid0(VALU_DEP_1) | instskip(SKIP_1) | instid1(VALU_DEP_1)
	v_fma_f64 v[124:125], v[2:3], v[46:47], v[0:1]
	v_and_b32_e32 v0, 0xffff, v34
	v_mul_u32_u24_e32 v0, 0xaaab, v0
	s_delay_alu instid0(VALU_DEP_1) | instskip(NEXT) | instid1(VALU_DEP_1)
	v_lshrrev_b32_e32 v5, 17, v0
	v_mul_lo_u16 v0, v5, 3
	s_delay_alu instid0(VALU_DEP_1) | instskip(NEXT) | instid1(VALU_DEP_1)
	v_sub_nc_u16 v6, v34, v0
	v_lshlrev_b16 v0, 1, v6
	s_delay_alu instid0(VALU_DEP_1) | instskip(NEXT) | instid1(VALU_DEP_1)
	v_and_b32_e32 v0, 0xffff, v0
	v_lshlrev_b32_e32 v36, 4, v0
	ds_load_b128 v[0:3], v8 offset:32832
	v_add_f64_e32 v[132:133], v[122:123], v[124:125]
	v_add_f64_e64 v[142:143], v[122:123], -v[124:125]
	global_load_b128 v[46:49], v36, s[10:11]
	s_wait_loadcnt_dscnt 0x0
	v_mul_f64_e32 v[34:35], v[2:3], v[48:49]
	scratch_store_b128 off, v[46:49], off offset:796 ; 16-byte Folded Spill
	v_fma_f64 v[134:135], v[0:1], v[46:47], -v[34:35]
	v_mul_f64_e32 v[0:1], v[0:1], v[48:49]
	s_delay_alu instid0(VALU_DEP_1)
	v_fma_f64 v[136:137], v[2:3], v[46:47], v[0:1]
	global_load_b128 v[46:49], v36, s[10:11] offset:16
	ds_load_b128 v[0:3], v8 offset:50112
	v_add_f64_e32 v[36:37], v[26:27], v[28:29]
	s_wait_loadcnt_dscnt 0x0
	v_mul_f64_e32 v[34:35], v[2:3], v[48:49]
	scratch_store_b128 off, v[46:49], off offset:812 ; 16-byte Folded Spill
	v_fma_f64 v[138:139], v[0:1], v[46:47], -v[34:35]
	v_mul_f64_e32 v[0:1], v[0:1], v[48:49]
	v_add_f64_e32 v[34:35], v[30:31], v[32:33]
	v_add_f64_e32 v[48:49], v[38:39], v[40:41]
	s_delay_alu instid0(VALU_DEP_3)
	v_fma_f64 v[140:141], v[2:3], v[46:47], v[0:1]
	ds_load_b128 v[0:3], v8
	v_add_f64_e64 v[46:47], v[26:27], -v[28:29]
	s_wait_dscnt 0x0
	v_fma_f64 v[34:35], v[34:35], -0.5, v[0:1]
	v_add_f64_e32 v[0:1], v[0:1], v[30:31]
	v_fma_f64 v[36:37], v[36:37], -0.5, v[2:3]
	v_add_f64_e32 v[2:3], v[2:3], v[26:27]
	v_add_f64_e32 v[144:145], v[136:137], v[140:141]
	s_delay_alu instid0(VALU_DEP_4)
	v_add_f64_e32 v[26:27], v[0:1], v[32:33]
	v_add_f64_e64 v[0:1], v[30:31], -v[32:33]
	v_fma_f64 v[30:31], v[46:47], s[12:13], v[34:35]
	v_fma_f64 v[34:35], v[46:47], s[14:15], v[34:35]
	v_add_f64_e32 v[46:47], v[42:43], v[44:45]
	v_add_f64_e32 v[28:29], v[2:3], v[28:29]
	v_fma_f64 v[32:33], v[0:1], s[14:15], v[36:37]
	v_fma_f64 v[36:37], v[0:1], s[12:13], v[36:37]
	ds_load_b128 v[0:3], v8 offset:1728
	s_wait_dscnt 0x0
	v_fma_f64 v[46:47], v[46:47], -0.5, v[0:1]
	v_add_f64_e32 v[0:1], v[0:1], v[42:43]
	v_fma_f64 v[48:49], v[48:49], -0.5, v[2:3]
	v_add_f64_e32 v[2:3], v[2:3], v[38:39]
	s_delay_alu instid0(VALU_DEP_3)
	v_add_f64_e32 v[38:39], v[0:1], v[44:45]
	v_add_f64_e64 v[0:1], v[42:43], -v[44:45]
	v_fma_f64 v[42:43], v[58:59], s[12:13], v[46:47]
	v_fma_f64 v[46:47], v[58:59], s[14:15], v[46:47]
	v_add_f64_e32 v[58:59], v[54:55], v[56:57]
	v_add_f64_e32 v[40:41], v[2:3], v[40:41]
	v_fma_f64 v[44:45], v[0:1], s[14:15], v[48:49]
	v_fma_f64 v[48:49], v[0:1], s[12:13], v[48:49]
	ds_load_b128 v[0:3], v8 offset:3456
	s_wait_dscnt 0x0
	v_fma_f64 v[58:59], v[58:59], -0.5, v[0:1]
	v_add_f64_e32 v[0:1], v[0:1], v[54:55]
	v_fma_f64 v[60:61], v[60:61], -0.5, v[2:3]
	v_add_f64_e32 v[2:3], v[2:3], v[50:51]
	s_delay_alu instid0(VALU_DEP_3)
	;; [unrolled: 15-line block ×6, first 2 shown]
	v_add_f64_e32 v[98:99], v[0:1], v[104:105]
	v_add_f64_e64 v[0:1], v[102:103], -v[104:105]
	v_fma_f64 v[102:103], v[118:119], s[12:13], v[106:107]
	v_fma_f64 v[106:107], v[118:119], s[14:15], v[106:107]
	v_add_f64_e32 v[118:119], v[114:115], v[116:117]
	v_add_f64_e32 v[100:101], v[2:3], v[100:101]
	v_fma_f64 v[104:105], v[0:1], s[14:15], v[108:109]
	v_fma_f64 v[108:109], v[0:1], s[12:13], v[108:109]
	ds_load_b128 v[0:3], v8 offset:12096
	s_wait_dscnt 0x0
	v_fma_f64 v[118:119], v[118:119], -0.5, v[0:1]
	v_add_f64_e32 v[0:1], v[0:1], v[114:115]
	v_fma_f64 v[120:121], v[120:121], -0.5, v[2:3]
	v_add_f64_e32 v[2:3], v[2:3], v[110:111]
	s_delay_alu instid0(VALU_DEP_3) | instskip(SKIP_1) | instid1(VALU_DEP_3)
	v_add_f64_e32 v[110:111], v[0:1], v[116:117]
	v_add_f64_e64 v[0:1], v[114:115], -v[116:117]
	v_add_f64_e32 v[112:113], v[2:3], v[112:113]
	v_fma_f64 v[114:115], v[130:131], s[12:13], v[118:119]
	v_fma_f64 v[118:119], v[130:131], s[14:15], v[118:119]
	v_add_f64_e32 v[130:131], v[126:127], v[128:129]
	v_fma_f64 v[116:117], v[0:1], s[14:15], v[120:121]
	v_fma_f64 v[120:121], v[0:1], s[12:13], v[120:121]
	ds_load_b128 v[0:3], v8 offset:13824
	s_wait_dscnt 0x0
	v_fma_f64 v[132:133], v[132:133], -0.5, v[2:3]
	v_add_f64_e32 v[2:3], v[2:3], v[122:123]
	v_fma_f64 v[130:131], v[130:131], -0.5, v[0:1]
	v_add_f64_e32 v[0:1], v[0:1], v[126:127]
	s_delay_alu instid0(VALU_DEP_3) | instskip(SKIP_1) | instid1(VALU_DEP_3)
	v_add_f64_e32 v[124:125], v[2:3], v[124:125]
	v_add_f64_e64 v[2:3], v[126:127], -v[128:129]
	v_add_f64_e32 v[122:123], v[0:1], v[128:129]
	v_fma_f64 v[126:127], v[142:143], s[12:13], v[130:131]
	v_fma_f64 v[0:1], v[142:143], s[14:15], v[130:131]
	v_add_f64_e32 v[142:143], v[134:135], v[138:139]
	v_fma_f64 v[128:129], v[2:3], s[14:15], v[132:133]
	v_fma_f64 v[2:3], v[2:3], s[12:13], v[132:133]
	ds_load_b128 v[130:133], v8 offset:15552
	global_wb scope:SCOPE_SE
	s_wait_storecnt_dscnt 0x0
	s_barrier_signal -1
	s_barrier_wait -1
	global_inv scope:SCOPE_SE
	ds_store_b128 v7, v[26:29]
	ds_store_b128 v7, v[30:33] offset:48
	ds_store_b128 v7, v[34:37] offset:96
	v_and_b32_e32 v7, 0xffff, v10
	s_delay_alu instid0(VALU_DEP_1) | instskip(NEXT) | instid1(VALU_DEP_1)
	v_mul_u32_u24_e32 v7, 9, v7
	v_add_lshl_u32 v7, v7, v11, 4
	v_fma_f64 v[144:145], v[144:145], -0.5, v[132:133]
	scratch_store_b32 off, v7, off offset:936 ; 4-byte Folded Spill
	ds_store_b128 v7, v[38:41]
	ds_store_b128 v7, v[42:45] offset:48
	ds_store_b128 v7, v[46:49] offset:96
	v_mad_u16 v7, v12, 9, v13
	v_add_f64_e32 v[132:133], v[132:133], v[136:137]
	v_fma_f64 v[142:143], v[142:143], -0.5, v[130:131]
	v_add_f64_e32 v[130:131], v[130:131], v[134:135]
	v_add_f64_e64 v[136:137], v[136:137], -v[140:141]
	v_and_b32_e32 v7, 0xffff, v7
	s_delay_alu instid0(VALU_DEP_1)
	v_lshlrev_b32_e32 v7, 4, v7
	scratch_store_b32 off, v7, off offset:932 ; 4-byte Folded Spill
	ds_store_b128 v7, v[50:53]
	ds_store_b128 v7, v[54:57] offset:48
	ds_store_b128 v7, v[58:61] offset:96
	v_mad_u16 v7, v14, 9, v15
	s_delay_alu instid0(VALU_DEP_1) | instskip(NEXT) | instid1(VALU_DEP_1)
	v_and_b32_e32 v7, 0xffff, v7
	v_lshlrev_b32_e32 v7, 4, v7
	scratch_store_b32 off, v7, off offset:924 ; 4-byte Folded Spill
	ds_store_b128 v7, v[62:65]
	ds_store_b128 v7, v[66:69] offset:48
	ds_store_b128 v7, v[70:73] offset:96
	v_mad_u16 v7, v16, 9, v17
	s_delay_alu instid0(VALU_DEP_1)
	v_and_b32_e32 v7, 0xffff, v7
	v_add_f64_e32 v[132:133], v[132:133], v[140:141]
	v_add_f64_e64 v[140:141], v[134:135], -v[138:139]
	v_add_f64_e32 v[130:131], v[130:131], v[138:139]
	v_fma_f64 v[134:135], v[136:137], s[12:13], v[142:143]
	v_lshlrev_b32_e32 v7, 4, v7
	v_fma_f64 v[138:139], v[136:137], s[14:15], v[142:143]
	scratch_store_b32 off, v7, off offset:852 ; 4-byte Folded Spill
	ds_store_b128 v7, v[74:77]
	ds_store_b128 v7, v[78:81] offset:48
	ds_store_b128 v7, v[82:85] offset:96
	v_mad_u16 v7, v18, 9, v19
	s_delay_alu instid0(VALU_DEP_1) | instskip(NEXT) | instid1(VALU_DEP_1)
	v_and_b32_e32 v7, 0xffff, v7
	v_lshlrev_b32_e32 v7, 4, v7
	scratch_store_b32 off, v7, off offset:844 ; 4-byte Folded Spill
	ds_store_b128 v7, v[86:89]
	ds_store_b128 v7, v[90:93] offset:48
	ds_store_b128 v7, v[94:97] offset:96
	v_mad_u16 v7, v20, 9, v21
	s_delay_alu instid0(VALU_DEP_1) | instskip(NEXT) | instid1(VALU_DEP_1)
	v_and_b32_e32 v7, 0xffff, v7
	v_lshlrev_b32_e32 v7, 4, v7
	v_fma_f64 v[136:137], v[140:141], s[14:15], v[144:145]
	v_fma_f64 v[140:141], v[140:141], s[12:13], v[144:145]
	scratch_store_b32 off, v7, off offset:840 ; 4-byte Folded Spill
	ds_store_b128 v7, v[98:101]
	ds_store_b128 v7, v[102:105] offset:48
	ds_store_b128 v7, v[106:109] offset:96
	v_mad_u16 v7, v22, 9, v23
	s_delay_alu instid0(VALU_DEP_1) | instskip(NEXT) | instid1(VALU_DEP_1)
	v_and_b32_e32 v7, 0xffff, v7
	v_lshlrev_b32_e32 v7, 4, v7
	scratch_store_b32 off, v7, off offset:832 ; 4-byte Folded Spill
	ds_store_b128 v7, v[110:113]
	ds_store_b128 v7, v[114:117] offset:48
	ds_store_b128 v7, v[118:121] offset:96
	v_mad_u16 v7, v24, 9, v25
	s_delay_alu instid0(VALU_DEP_1) | instskip(NEXT) | instid1(VALU_DEP_1)
	v_and_b32_e32 v7, 0xffff, v7
	v_lshlrev_b32_e32 v7, 4, v7
	ds_store_b128 v7, v[122:125]
	ds_store_b128 v7, v[126:129] offset:48
	ds_store_b128 v7, v[0:3] offset:96
	v_mad_u16 v0, v5, 9, v6
	s_delay_alu instid0(VALU_DEP_1) | instskip(NEXT) | instid1(VALU_DEP_1)
	v_and_b32_e32 v0, 0xffff, v0
	v_lshlrev_b32_e32 v0, 4, v0
	s_clause 0x1
	scratch_store_b32 off, v7, off offset:1176
	scratch_store_b32 off, v0, off offset:1156
	ds_store_b128 v0, v[130:133]
	ds_store_b128 v0, v[134:137] offset:48
	ds_store_b128 v0, v[138:141] offset:96
	v_mul_lo_u16 v0, v4, 57
	global_wb scope:SCOPE_SE
	s_wait_storecnt_dscnt 0x0
	s_barrier_signal -1
	s_barrier_wait -1
	global_inv scope:SCOPE_SE
	v_lshrrev_b16 v9, 9, v0
	s_delay_alu instid0(VALU_DEP_1) | instskip(SKIP_1) | instid1(VALU_DEP_2)
	v_mul_lo_u16 v0, v9, 9
	v_and_b32_e32 v9, 0xffff, v9
	v_sub_nc_u16 v0, v172, v0
	s_delay_alu instid0(VALU_DEP_2) | instskip(NEXT) | instid1(VALU_DEP_2)
	v_mul_u32_u24_e32 v9, 0x5a, v9
	v_and_b32_e32 v163, 0xff, v0
	ds_load_b128 v[0:3], v8 offset:5184
	v_mad_co_u64_u32 v[4:5], null, 0x90, v163, s[10:11]
	v_add_lshl_u32 v9, v9, v163, 4
	global_load_b128 v[10:13], v[4:5], off offset:96
	s_wait_loadcnt_dscnt 0x0
	v_mul_f64_e32 v[6:7], v[2:3], v[12:13]
	scratch_store_b128 off, v[10:13], off offset:856 ; 16-byte Folded Spill
	v_fma_f64 v[16:17], v[0:1], v[10:11], -v[6:7]
	v_mul_f64_e32 v[0:1], v[0:1], v[12:13]
	s_delay_alu instid0(VALU_DEP_1)
	v_fma_f64 v[18:19], v[2:3], v[10:11], v[0:1]
	global_load_b128 v[10:13], v[4:5], off offset:112
	ds_load_b128 v[0:3], v8 offset:10368
	s_wait_loadcnt_dscnt 0x0
	v_mul_f64_e32 v[6:7], v[2:3], v[12:13]
	scratch_store_b128 off, v[10:13], off offset:872 ; 16-byte Folded Spill
	v_fma_f64 v[20:21], v[0:1], v[10:11], -v[6:7]
	v_mul_f64_e32 v[0:1], v[0:1], v[12:13]
	s_delay_alu instid0(VALU_DEP_1)
	v_fma_f64 v[22:23], v[2:3], v[10:11], v[0:1]
	global_load_b128 v[10:13], v[4:5], off offset:128
	ds_load_b128 v[0:3], v8 offset:15552
	;; [unrolled: 9-line block ×5, first 2 shown]
	s_wait_loadcnt_dscnt 0x0
	v_mul_f64_e32 v[6:7], v[2:3], v[12:13]
	scratch_store_b128 off, v[10:13], off offset:960 ; 16-byte Folded Spill
	v_fma_f64 v[52:53], v[0:1], v[10:11], -v[6:7]
	v_mul_f64_e32 v[0:1], v[0:1], v[12:13]
	s_delay_alu instid0(VALU_DEP_2) | instskip(NEXT) | instid1(VALU_DEP_2)
	v_add_f64_e64 v[220:221], v[28:29], -v[52:53]
	v_fma_f64 v[54:55], v[2:3], v[10:11], v[0:1]
	global_load_b128 v[10:13], v[4:5], off offset:192
	ds_load_b128 v[0:3], v8 offset:36288
	v_add_f64_e64 v[216:217], v[30:31], -v[54:55]
	s_wait_loadcnt_dscnt 0x0
	v_mul_f64_e32 v[6:7], v[2:3], v[12:13]
	scratch_store_b128 off, v[10:13], off offset:976 ; 16-byte Folded Spill
	v_fma_f64 v[58:59], v[0:1], v[10:11], -v[6:7]
	v_mul_f64_e32 v[0:1], v[0:1], v[12:13]
	s_delay_alu instid0(VALU_DEP_2) | instskip(NEXT) | instid1(VALU_DEP_2)
	v_add_f64_e64 v[187:188], v[48:49], -v[58:59]
	v_fma_f64 v[56:57], v[2:3], v[10:11], v[0:1]
	global_load_b128 v[10:13], v[4:5], off offset:208
	ds_load_b128 v[0:3], v8 offset:41472
	v_add_f64_e64 v[191:192], v[46:47], -v[56:57]
	;; [unrolled: 11-line block ×3, first 2 shown]
	s_wait_loadcnt_dscnt 0x0
	v_mul_f64_e32 v[4:5], v[2:3], v[12:13]
	scratch_store_b128 off, v[10:13], off offset:1012 ; 16-byte Folded Spill
	v_fma_f64 v[94:95], v[0:1], v[10:11], -v[4:5]
	v_mul_f64_e32 v[0:1], v[0:1], v[12:13]
	s_delay_alu instid0(VALU_DEP_2) | instskip(NEXT) | instid1(VALU_DEP_2)
	v_add_f64_e64 v[185:186], v[26:27], -v[94:95]
	v_fma_f64 v[92:93], v[2:3], v[10:11], v[0:1]
	v_mul_lo_u16 v0, v160, 57
	s_delay_alu instid0(VALU_DEP_1) | instskip(NEXT) | instid1(VALU_DEP_1)
	v_lshrrev_b16 v10, 9, v0
	v_mul_lo_u16 v0, v10, 9
	s_delay_alu instid0(VALU_DEP_1) | instskip(NEXT) | instid1(VALU_DEP_1)
	v_sub_nc_u16 v0, v155, v0
	v_and_b32_e32 v11, 0xff, v0
	ds_load_b128 v[0:3], v8 offset:6912
	v_mad_co_u64_u32 v[4:5], null, 0x90, v11, s[10:11]
	s_clause 0x2
	global_load_b128 v[12:15], v[4:5], off offset:96
	global_load_b128 v[248:251], v[4:5], off offset:208
	;; [unrolled: 1-line block ×3, first 2 shown]
	v_add_f64_e64 v[189:190], v[24:25], -v[92:93]
	s_wait_loadcnt_dscnt 0x200
	v_mul_f64_e32 v[6:7], v[2:3], v[14:15]
	scratch_store_b128 off, v[12:15], off offset:1028 ; 16-byte Folded Spill
	v_fma_f64 v[32:33], v[0:1], v[12:13], -v[6:7]
	v_mul_f64_e32 v[0:1], v[0:1], v[14:15]
	s_delay_alu instid0(VALU_DEP_1)
	v_fma_f64 v[34:35], v[2:3], v[12:13], v[0:1]
	global_load_b128 v[12:15], v[4:5], off offset:112
	ds_load_b128 v[0:3], v8 offset:12096
	s_wait_loadcnt_dscnt 0x0
	v_mul_f64_e32 v[6:7], v[2:3], v[14:15]
	scratch_store_b128 off, v[12:15], off offset:1044 ; 16-byte Folded Spill
	v_fma_f64 v[36:37], v[0:1], v[12:13], -v[6:7]
	v_mul_f64_e32 v[0:1], v[0:1], v[14:15]
	s_delay_alu instid0(VALU_DEP_1)
	v_fma_f64 v[38:39], v[2:3], v[12:13], v[0:1]
	global_load_b128 v[12:15], v[4:5], off offset:128
	ds_load_b128 v[0:3], v8 offset:17280
	;; [unrolled: 9-line block ×6, first 2 shown]
	s_wait_loadcnt_dscnt 0x0
	v_mul_f64_e32 v[6:7], v[2:3], v[14:15]
	scratch_store_b128 off, v[12:15], off offset:1124 ; 16-byte Folded Spill
	v_fma_f64 v[90:91], v[0:1], v[12:13], -v[6:7]
	v_mul_f64_e32 v[0:1], v[0:1], v[14:15]
	s_delay_alu instid0(VALU_DEP_1) | instskip(SKIP_3) | instid1(VALU_DEP_1)
	v_fma_f64 v[88:89], v[2:3], v[12:13], v[0:1]
	ds_load_b128 v[0:3], v8 offset:43200
	s_wait_dscnt 0x0
	v_mul_f64_e32 v[6:7], v[2:3], v[250:251]
	v_fma_f64 v[96:97], v[0:1], v[248:249], -v[6:7]
	v_mul_f64_e32 v[0:1], v[0:1], v[250:251]
	s_delay_alu instid0(VALU_DEP_1) | instskip(SKIP_3) | instid1(VALU_DEP_1)
	v_fma_f64 v[98:99], v[2:3], v[248:249], v[0:1]
	ds_load_b128 v[0:3], v8 offset:48384
	s_wait_dscnt 0x0
	v_mul_f64_e32 v[4:5], v[2:3], v[246:247]
	v_fma_f64 v[106:107], v[0:1], v[244:245], -v[4:5]
	v_mul_f64_e32 v[0:1], v[0:1], v[246:247]
	s_delay_alu instid0(VALU_DEP_1) | instskip(SKIP_1) | instid1(VALU_DEP_1)
	v_fma_f64 v[104:105], v[2:3], v[244:245], v[0:1]
	v_mul_u32_u24_e32 v0, 0xe38f, v159
	v_lshrrev_b32_e32 v161, 19, v0
	s_delay_alu instid0(VALU_DEP_1) | instskip(NEXT) | instid1(VALU_DEP_1)
	v_mul_lo_u16 v0, v161, 9
	v_sub_nc_u16 v162, v156, v0
	s_delay_alu instid0(VALU_DEP_1) | instskip(NEXT) | instid1(VALU_DEP_1)
	v_mul_lo_u16 v0, 0x90, v162
	v_and_b32_e32 v0, 0xffff, v0
	s_delay_alu instid0(VALU_DEP_1)
	v_add_co_u32 v4, s16, s10, v0
	s_wait_alu 0xf1ff
	v_add_co_ci_u32_e64 v5, null, s11, 0, s16
	ds_load_b128 v[0:3], v8 offset:8640
	s_mov_b32 s16, 0x4755a5e
	s_mov_b32 s17, 0x3fe2cf23
	s_clause 0x8
	global_load_b128 v[196:199], v[4:5], off offset:224
	global_load_b128 v[240:243], v[4:5], off offset:96
	;; [unrolled: 1-line block ×9, first 2 shown]
	s_wait_alu 0xfffe
	s_mov_b32 s20, s16
	s_wait_loadcnt_dscnt 0x700
	v_mul_f64_e32 v[6:7], v[2:3], v[242:243]
	s_delay_alu instid0(VALU_DEP_1) | instskip(SKIP_1) | instid1(VALU_DEP_1)
	v_fma_f64 v[44:45], v[0:1], v[240:241], -v[6:7]
	v_mul_f64_e32 v[0:1], v[0:1], v[242:243]
	v_fma_f64 v[50:51], v[2:3], v[240:241], v[0:1]
	ds_load_b128 v[0:3], v8 offset:13824
	s_wait_loadcnt_dscnt 0x600
	v_mul_f64_e32 v[6:7], v[2:3], v[238:239]
	s_delay_alu instid0(VALU_DEP_1) | instskip(SKIP_1) | instid1(VALU_DEP_1)
	v_fma_f64 v[64:65], v[0:1], v[236:237], -v[6:7]
	v_mul_f64_e32 v[0:1], v[0:1], v[238:239]
	v_fma_f64 v[66:67], v[2:3], v[236:237], v[0:1]
	ds_load_b128 v[0:3], v8 offset:19008
	s_wait_loadcnt_dscnt 0x500
	v_mul_f64_e32 v[6:7], v[2:3], v[234:235]
	s_delay_alu instid0(VALU_DEP_1) | instskip(SKIP_1) | instid1(VALU_DEP_2)
	v_fma_f64 v[70:71], v[0:1], v[232:233], -v[6:7]
	v_mul_f64_e32 v[0:1], v[0:1], v[234:235]
	v_add_f64_e32 v[148:149], v[44:45], v[70:71]
	s_delay_alu instid0(VALU_DEP_2) | instskip(SKIP_4) | instid1(VALU_DEP_2)
	v_fma_f64 v[68:69], v[2:3], v[232:233], v[0:1]
	ds_load_b128 v[0:3], v8 offset:24192
	s_wait_loadcnt_dscnt 0x400
	v_mul_f64_e32 v[6:7], v[2:3], v[230:231]
	v_add_f64_e32 v[150:151], v[50:51], v[68:69]
	v_fma_f64 v[76:77], v[0:1], v[228:229], -v[6:7]
	v_mul_f64_e32 v[0:1], v[0:1], v[230:231]
	s_delay_alu instid0(VALU_DEP_1) | instskip(SKIP_3) | instid1(VALU_DEP_1)
	v_fma_f64 v[78:79], v[2:3], v[228:229], v[0:1]
	ds_load_b128 v[0:3], v8 offset:29376
	s_wait_loadcnt_dscnt 0x300
	v_mul_f64_e32 v[6:7], v[2:3], v[214:215]
	v_fma_f64 v[102:103], v[0:1], v[212:213], -v[6:7]
	v_mul_f64_e32 v[0:1], v[0:1], v[214:215]
	s_delay_alu instid0(VALU_DEP_2) | instskip(NEXT) | instid1(VALU_DEP_2)
	v_add_f64_e32 v[148:149], v[148:149], v[102:103]
	v_fma_f64 v[100:101], v[2:3], v[212:213], v[0:1]
	ds_load_b128 v[0:3], v8 offset:34560
	s_wait_loadcnt_dscnt 0x200
	v_mul_f64_e32 v[6:7], v[2:3], v[210:211]
	v_add_f64_e32 v[150:151], v[150:151], v[100:101]
	s_delay_alu instid0(VALU_DEP_2) | instskip(SKIP_1) | instid1(VALU_DEP_2)
	v_fma_f64 v[108:109], v[0:1], v[208:209], -v[6:7]
	v_mul_f64_e32 v[0:1], v[0:1], v[210:211]
	v_add_f64_e32 v[140:141], v[76:77], v[108:109]
	s_delay_alu instid0(VALU_DEP_2) | instskip(SKIP_3) | instid1(VALU_DEP_1)
	v_fma_f64 v[110:111], v[2:3], v[208:209], v[0:1]
	ds_load_b128 v[0:3], v8 offset:39744
	s_wait_loadcnt_dscnt 0x100
	v_mul_f64_e32 v[6:7], v[2:3], v[206:207]
	v_fma_f64 v[114:115], v[0:1], v[204:205], -v[6:7]
	v_mul_f64_e32 v[0:1], v[0:1], v[206:207]
	s_delay_alu instid0(VALU_DEP_2) | instskip(NEXT) | instid1(VALU_DEP_2)
	v_add_f64_e32 v[148:149], v[148:149], v[114:115]
	v_fma_f64 v[112:113], v[2:3], v[204:205], v[0:1]
	ds_load_b128 v[0:3], v8 offset:44928
	s_wait_loadcnt_dscnt 0x0
	v_mul_f64_e32 v[6:7], v[2:3], v[202:203]
	v_add_f64_e32 v[150:151], v[150:151], v[112:113]
	s_delay_alu instid0(VALU_DEP_2) | instskip(SKIP_2) | instid1(VALU_DEP_3)
	v_fma_f64 v[116:117], v[0:1], v[200:201], -v[6:7]
	v_mul_f64_e32 v[0:1], v[0:1], v[202:203]
	v_add_f64_e32 v[6:7], v[18:19], v[24:25]
	v_add_f64_e32 v[142:143], v[64:65], v[116:117]
	s_delay_alu instid0(VALU_DEP_3)
	v_fma_f64 v[118:119], v[2:3], v[200:201], v[0:1]
	ds_load_b128 v[0:3], v8 offset:50112
	v_add_f64_e32 v[6:7], v[6:7], v[46:47]
	s_wait_dscnt 0x0
	v_mul_f64_e32 v[4:5], v[2:3], v[198:199]
	v_add_f64_e32 v[146:147], v[66:67], v[118:119]
	s_delay_alu instid0(VALU_DEP_3) | instskip(NEXT) | instid1(VALU_DEP_3)
	v_add_f64_e32 v[6:7], v[6:7], v[56:57]
	v_fma_f64 v[122:123], v[0:1], v[196:197], -v[4:5]
	v_mul_f64_e32 v[0:1], v[0:1], v[198:199]
	v_add_f64_e32 v[4:5], v[28:29], v[52:53]
	s_delay_alu instid0(VALU_DEP_4) | instskip(NEXT) | instid1(VALU_DEP_4)
	v_add_f64_e32 v[6:7], v[6:7], v[92:93]
	v_add_f64_e32 v[173:174], v[148:149], v[122:123]
	s_delay_alu instid0(VALU_DEP_4)
	v_fma_f64 v[120:121], v[2:3], v[196:197], v[0:1]
	ds_load_b128 v[0:3], v8
	s_wait_dscnt 0x0
	v_fma_f64 v[124:125], v[4:5], -0.5, v[0:1]
	v_add_f64_e32 v[4:5], v[20:21], v[72:73]
	v_add_f64_e32 v[175:176], v[150:151], v[120:121]
	s_delay_alu instid0(VALU_DEP_2) | instskip(SKIP_2) | instid1(VALU_DEP_2)
	v_fma_f64 v[128:129], v[4:5], -0.5, v[0:1]
	v_add_f64_e32 v[4:5], v[30:31], v[54:55]
	v_add_f64_e32 v[0:1], v[0:1], v[20:21]
	v_fma_f64 v[126:127], v[4:5], -0.5, v[2:3]
	v_add_f64_e32 v[4:5], v[22:23], v[74:75]
	s_delay_alu instid0(VALU_DEP_3) | instskip(NEXT) | instid1(VALU_DEP_2)
	v_add_f64_e32 v[0:1], v[0:1], v[28:29]
	v_fma_f64 v[130:131], v[4:5], -0.5, v[2:3]
	v_add_f64_e32 v[4:5], v[16:17], v[26:27]
	v_add_f64_e32 v[2:3], v[2:3], v[22:23]
	s_delay_alu instid0(VALU_DEP_4) | instskip(NEXT) | instid1(VALU_DEP_3)
	v_add_f64_e32 v[0:1], v[0:1], v[52:53]
	v_add_f64_e32 v[4:5], v[4:5], v[48:49]
	s_delay_alu instid0(VALU_DEP_3) | instskip(NEXT) | instid1(VALU_DEP_3)
	v_add_f64_e32 v[2:3], v[2:3], v[30:31]
	v_add_f64_e32 v[0:1], v[0:1], v[72:73]
	s_delay_alu instid0(VALU_DEP_3) | instskip(NEXT) | instid1(VALU_DEP_3)
	v_add_f64_e32 v[4:5], v[4:5], v[58:59]
	v_add_f64_e32 v[2:3], v[2:3], v[54:55]
	s_delay_alu instid0(VALU_DEP_2) | instskip(NEXT) | instid1(VALU_DEP_2)
	v_add_f64_e32 v[4:5], v[4:5], v[94:95]
	v_add_f64_e32 v[2:3], v[2:3], v[74:75]
	s_delay_alu instid0(VALU_DEP_2) | instskip(SKIP_2) | instid1(VALU_DEP_4)
	v_add_f64_e32 v[164:165], v[0:1], v[4:5]
	v_add_f64_e64 v[168:169], v[0:1], -v[4:5]
	v_add_f64_e32 v[4:5], v[60:61], v[84:85]
	v_add_f64_e32 v[166:167], v[2:3], v[6:7]
	v_add_f64_e64 v[170:171], v[2:3], -v[6:7]
	ds_load_b128 v[0:3], v8 offset:1728
	v_add_f64_e32 v[6:7], v[34:35], v[40:41]
	s_wait_dscnt 0x0
	v_fma_f64 v[132:133], v[4:5], -0.5, v[0:1]
	v_add_f64_e32 v[4:5], v[36:37], v[96:97]
	s_delay_alu instid0(VALU_DEP_3) | instskip(NEXT) | instid1(VALU_DEP_2)
	v_add_f64_e32 v[6:7], v[6:7], v[80:81]
	v_fma_f64 v[136:137], v[4:5], -0.5, v[0:1]
	v_add_f64_e32 v[4:5], v[62:63], v[86:87]
	v_add_f64_e32 v[0:1], v[0:1], v[36:37]
	s_delay_alu instid0(VALU_DEP_4) | instskip(NEXT) | instid1(VALU_DEP_3)
	v_add_f64_e32 v[6:7], v[6:7], v[88:89]
	v_fma_f64 v[134:135], v[4:5], -0.5, v[2:3]
	v_add_f64_e32 v[4:5], v[38:39], v[98:99]
	s_delay_alu instid0(VALU_DEP_4) | instskip(NEXT) | instid1(VALU_DEP_4)
	v_add_f64_e32 v[0:1], v[0:1], v[60:61]
	v_add_f64_e32 v[6:7], v[6:7], v[104:105]
	s_delay_alu instid0(VALU_DEP_3) | instskip(SKIP_3) | instid1(VALU_DEP_3)
	v_fma_f64 v[138:139], v[4:5], -0.5, v[2:3]
	v_add_f64_e32 v[2:3], v[2:3], v[38:39]
	v_add_f64_e32 v[4:5], v[32:33], v[42:43]
	;; [unrolled: 1-line block ×4, first 2 shown]
	s_delay_alu instid0(VALU_DEP_3) | instskip(NEXT) | instid1(VALU_DEP_3)
	v_add_f64_e32 v[4:5], v[4:5], v[82:83]
	v_add_f64_e32 v[12:13], v[0:1], v[96:97]
	s_delay_alu instid0(VALU_DEP_3) | instskip(NEXT) | instid1(VALU_DEP_3)
	v_add_f64_e32 v[2:3], v[2:3], v[86:87]
	v_add_f64_e32 v[4:5], v[4:5], v[90:91]
	s_delay_alu instid0(VALU_DEP_2) | instskip(NEXT) | instid1(VALU_DEP_2)
	v_add_f64_e32 v[14:15], v[2:3], v[98:99]
	v_add_f64_e32 v[4:5], v[4:5], v[106:107]
	s_delay_alu instid0(VALU_DEP_2) | instskip(NEXT) | instid1(VALU_DEP_2)
	v_add_f64_e32 v[2:3], v[14:15], v[6:7]
	v_add_f64_e32 v[0:1], v[12:13], v[4:5]
	v_add_f64_e64 v[4:5], v[12:13], -v[4:5]
	v_add_f64_e64 v[6:7], v[14:15], -v[6:7]
	ds_load_b128 v[12:15], v8 offset:3456
	global_wb scope:SCOPE_SE
	s_wait_storecnt_dscnt 0x0
	s_barrier_signal -1
	s_barrier_wait -1
	global_inv scope:SCOPE_SE
	ds_store_b128 v9, v[164:167]
	ds_store_b128 v9, v[168:171] offset:720
	v_add_f64_e64 v[163:164], v[20:21], -v[28:29]
	v_add_f64_e64 v[165:166], v[72:73], -v[52:53]
	;; [unrolled: 1-line block ×5, first 2 shown]
	scratch_store_b32 off, v9, off offset:1620 ; 4-byte Folded Spill
	v_fma_f64 v[140:141], v[140:141], -0.5, v[12:13]
	v_fma_f64 v[144:145], v[142:143], -0.5, v[12:13]
	v_add_f64_e32 v[142:143], v[78:79], v[110:111]
	v_add_f64_e32 v[12:13], v[12:13], v[64:65]
	v_fma_f64 v[146:147], v[146:147], -0.5, v[14:15]
	v_add_f64_e32 v[28:29], v[20:21], v[28:29]
	s_delay_alu instid0(VALU_DEP_4) | instskip(SKIP_2) | instid1(VALU_DEP_2)
	v_fma_f64 v[142:143], v[142:143], -0.5, v[14:15]
	v_add_f64_e32 v[14:15], v[14:15], v[66:67]
	v_add_f64_e32 v[12:13], v[12:13], v[76:77]
	;; [unrolled: 1-line block ×3, first 2 shown]
	s_delay_alu instid0(VALU_DEP_2) | instskip(NEXT) | instid1(VALU_DEP_2)
	v_add_f64_e32 v[12:13], v[12:13], v[108:109]
	v_add_f64_e32 v[14:15], v[14:15], v[110:111]
	s_delay_alu instid0(VALU_DEP_2) | instskip(NEXT) | instid1(VALU_DEP_2)
	v_add_f64_e32 v[12:13], v[12:13], v[116:117]
	v_add_f64_e32 v[14:15], v[14:15], v[118:119]
	s_delay_alu instid0(VALU_DEP_2)
	v_add_f64_e32 v[148:149], v[12:13], v[173:174]
	v_add_f64_e64 v[12:13], v[12:13], -v[173:174]
	v_add_f64_e32 v[173:174], v[163:164], v[165:166]
	v_add_f64_e64 v[163:164], v[22:23], -v[30:31]
	v_add_f64_e64 v[165:166], v[74:75], -v[54:55]
	;; [unrolled: 1-line block ×5, first 2 shown]
	v_add_f64_e32 v[150:151], v[14:15], v[175:176]
	v_add_f64_e64 v[14:15], v[14:15], -v[175:176]
	v_add_f64_e32 v[175:176], v[163:164], v[165:166]
	v_add_f64_e64 v[163:164], v[26:27], -v[48:49]
	v_add_f64_e64 v[165:166], v[94:95], -v[58:59]
	v_add_f64_e32 v[30:31], v[22:23], v[30:31]
	s_delay_alu instid0(VALU_DEP_2) | instskip(SKIP_2) | instid1(VALU_DEP_1)
	v_add_f64_e32 v[177:178], v[163:164], v[165:166]
	v_add_f64_e64 v[163:164], v[24:25], -v[46:47]
	v_add_f64_e64 v[165:166], v[92:93], -v[56:57]
	v_add_f64_e32 v[179:180], v[163:164], v[165:166]
	v_add_f64_e32 v[163:164], v[48:49], v[58:59]
	v_add_f64_e64 v[48:49], v[48:49], -v[26:27]
	v_add_f64_e32 v[26:27], v[26:27], v[94:95]
	s_delay_alu instid0(VALU_DEP_3)
	v_fma_f64 v[181:182], v[163:164], -0.5, v[16:17]
	v_add_f64_e32 v[163:164], v[46:47], v[56:57]
	v_add_f64_e64 v[46:47], v[46:47], -v[24:25]
	v_add_f64_e32 v[24:25], v[24:25], v[92:93]
	v_fma_f64 v[26:27], v[26:27], -0.5, v[16:17]
	v_add_f64_e32 v[48:49], v[48:49], v[52:53]
	v_fma_f64 v[165:166], v[189:190], s[22:23], v[181:182]
	v_fma_f64 v[183:184], v[163:164], -0.5, v[18:19]
	v_add_f64_e32 v[46:47], v[46:47], v[54:55]
	v_fma_f64 v[24:25], v[24:25], -0.5, v[18:19]
	v_fma_f64 v[18:19], v[191:192], s[24:25], v[26:27]
	v_fma_f64 v[26:27], v[191:192], s[22:23], v[26:27]
	;; [unrolled: 1-line block ×16, first 2 shown]
	s_delay_alu instid0(VALU_DEP_3) | instskip(SKIP_1) | instid1(VALU_DEP_4)
	v_fma_f64 v[24:25], v[46:47], s[18:19], v[24:25]
	v_mul_f64_e32 v[46:47], s[28:29], v[26:27]
	v_mul_f64_e32 v[167:168], s[16:17], v[163:164]
	s_delay_alu instid0(VALU_DEP_4) | instskip(NEXT) | instid1(VALU_DEP_3)
	v_mul_f64_e32 v[20:21], s[22:23], v[16:17]
	v_fma_f64 v[46:47], v[24:25], s[22:23], v[46:47]
	v_mul_f64_e32 v[24:25], s[28:29], v[24:25]
	s_delay_alu instid0(VALU_DEP_4) | instskip(SKIP_4) | instid1(VALU_DEP_4)
	v_fma_f64 v[167:168], v[165:166], s[26:27], v[167:168]
	v_mul_f64_e32 v[165:166], s[20:21], v[165:166]
	v_fma_f64 v[20:21], v[18:19], s[18:19], v[20:21]
	v_mul_f64_e32 v[18:19], s[24:25], v[18:19]
	v_fma_f64 v[48:49], v[26:27], s[24:25], v[24:25]
	v_fma_f64 v[169:170], v[163:164], s[26:27], v[165:166]
	;; [unrolled: 1-line block ×3, first 2 shown]
	s_delay_alu instid0(VALU_DEP_4) | instskip(SKIP_4) | instid1(VALU_DEP_4)
	v_fma_f64 v[22:23], v[16:17], s[18:19], v[18:19]
	v_fma_f64 v[16:17], v[216:217], s[24:25], v[128:129]
	;; [unrolled: 1-line block ×6, first 2 shown]
	s_delay_alu instid0(VALU_DEP_4) | instskip(NEXT) | instid1(VALU_DEP_4)
	v_fma_f64 v[18:19], v[218:219], s[20:21], v[18:19]
	v_fma_f64 v[165:166], v[220:221], s[20:21], v[165:166]
	s_delay_alu instid0(VALU_DEP_4) | instskip(NEXT) | instid1(VALU_DEP_4)
	v_fma_f64 v[222:223], v[173:174], s[18:19], v[163:164]
	v_fma_f64 v[52:53], v[28:29], s[18:19], v[16:17]
	;; [unrolled: 3-line block ×3, first 2 shown]
	s_delay_alu instid0(VALU_DEP_4)
	v_add_f64_e32 v[163:164], v[222:223], v[167:168]
	v_add_f64_e64 v[167:168], v[222:223], -v[167:168]
	v_add_f64_e32 v[16:17], v[52:53], v[20:21]
	v_add_f64_e64 v[20:21], v[52:53], -v[20:21]
	v_fma_f64 v[52:53], v[216:217], s[22:23], v[128:129]
	v_add_f64_e32 v[18:19], v[54:55], v[22:23]
	v_add_f64_e64 v[22:23], v[54:55], -v[22:23]
	v_fma_f64 v[54:55], v[185:186], s[22:23], v[183:184]
	v_add_f64_e64 v[183:184], v[62:63], -v[86:87]
	v_add_f64_e64 v[185:186], v[36:37], -v[96:97]
	v_add_f64_e32 v[165:166], v[224:225], v[169:170]
	v_add_f64_e64 v[169:170], v[224:225], -v[169:170]
	v_fma_f64 v[52:53], v[193:194], s[20:21], v[52:53]
	v_fma_f64 v[54:55], v[187:188], s[16:17], v[54:55]
	v_add_f64_e64 v[187:188], v[60:61], -v[84:85]
	s_delay_alu instid0(VALU_DEP_3) | instskip(SKIP_1) | instid1(VALU_DEP_2)
	v_fma_f64 v[28:29], v[28:29], s[18:19], v[52:53]
	v_fma_f64 v[52:53], v[220:221], s[24:25], v[130:131]
	v_add_f64_e32 v[24:25], v[28:29], v[46:47]
	s_delay_alu instid0(VALU_DEP_2) | instskip(SKIP_3) | instid1(VALU_DEP_4)
	v_fma_f64 v[52:53], v[218:219], s[16:17], v[52:53]
	v_add_f64_e64 v[28:29], v[28:29], -v[46:47]
	v_fma_f64 v[46:47], v[189:190], s[24:25], v[181:182]
	v_add_f64_e64 v[181:182], v[38:39], -v[98:99]
	v_fma_f64 v[30:31], v[30:31], s[18:19], v[52:53]
	v_fma_f64 v[52:53], v[218:219], s[22:23], v[126:127]
	s_delay_alu instid0(VALU_DEP_4) | instskip(NEXT) | instid1(VALU_DEP_3)
	v_fma_f64 v[46:47], v[191:192], s[20:21], v[46:47]
	v_add_f64_e32 v[26:27], v[30:31], v[48:49]
	v_add_f64_e64 v[30:31], v[30:31], -v[48:49]
	v_fma_f64 v[48:49], v[193:194], s[24:25], v[124:125]
	v_fma_f64 v[52:53], v[220:221], s[16:17], v[52:53]
	;; [unrolled: 1-line block ×3, first 2 shown]
	v_add_f64_e64 v[177:178], v[40:41], -v[104:105]
	s_delay_alu instid0(VALU_DEP_4) | instskip(NEXT) | instid1(VALU_DEP_4)
	v_fma_f64 v[48:49], v[216:217], s[20:21], v[48:49]
	v_fma_f64 v[58:59], v[175:176], s[18:19], v[52:53]
	s_delay_alu instid0(VALU_DEP_4) | instskip(SKIP_1) | instid1(VALU_DEP_4)
	v_mul_f64_e32 v[52:53], s[30:31], v[46:47]
	v_add_f64_e64 v[175:176], v[82:83], -v[90:91]
	v_fma_f64 v[56:57], v[173:174], s[18:19], v[48:49]
	v_fma_f64 v[48:49], v[179:180], s[18:19], v[54:55]
	v_add_f64_e64 v[179:180], v[80:81], -v[88:89]
	v_add_f64_e64 v[173:174], v[42:43], -v[106:107]
	s_delay_alu instid0(VALU_DEP_3) | instskip(SKIP_1) | instid1(VALU_DEP_1)
	v_fma_f64 v[52:53], v[48:49], s[16:17], v[52:53]
	v_mul_f64_e32 v[48:49], s[30:31], v[48:49]
	v_fma_f64 v[54:55], v[46:47], s[20:21], v[48:49]
	s_delay_alu instid0(VALU_DEP_3)
	v_add_f64_e32 v[46:47], v[56:57], v[52:53]
	v_add_f64_e64 v[52:53], v[56:57], -v[52:53]
	v_add_f64_e64 v[56:57], v[36:37], -v[60:61]
	;; [unrolled: 1-line block ×4, first 2 shown]
	v_add_f64_e32 v[48:49], v[58:59], v[54:55]
	v_add_f64_e64 v[54:55], v[58:59], -v[54:55]
	v_add_f64_e64 v[58:59], v[96:97], -v[84:85]
	;; [unrolled: 1-line block ×3, first 2 shown]
	ds_store_b128 v9, v[163:166] offset:144
	ds_store_b128 v9, v[16:19] offset:288
	;; [unrolled: 1-line block ×8, first 2 shown]
	v_add_f64_e32 v[60:61], v[36:37], v[60:61]
	v_and_b32_e32 v9, 0xffff, v10
	v_add_f64_e32 v[92:93], v[56:57], v[58:59]
	v_add_f64_e64 v[56:57], v[38:39], -v[62:63]
	v_add_f64_e64 v[58:59], v[98:99], -v[86:87]
	;; [unrolled: 1-line block ×5, first 2 shown]
	v_mul_u32_u24_e32 v9, 0x5a, v9
	s_delay_alu instid0(VALU_DEP_1)
	v_add_lshl_u32 v9, v9, v11, 4
	scratch_store_b32 off, v9, off offset:1408 ; 4-byte Folded Spill
	v_add_f64_e32 v[94:95], v[56:57], v[58:59]
	v_add_f64_e64 v[56:57], v[42:43], -v[82:83]
	v_add_f64_e64 v[58:59], v[106:107], -v[90:91]
	v_add_f64_e32 v[62:63], v[38:39], v[62:63]
	s_delay_alu instid0(VALU_DEP_2) | instskip(SKIP_2) | instid1(VALU_DEP_1)
	v_add_f64_e32 v[124:125], v[56:57], v[58:59]
	v_add_f64_e64 v[56:57], v[40:41], -v[80:81]
	v_add_f64_e64 v[58:59], v[104:105], -v[88:89]
	v_add_f64_e32 v[126:127], v[56:57], v[58:59]
	v_add_f64_e32 v[56:57], v[82:83], v[90:91]
	v_add_f64_e64 v[82:83], v[82:83], -v[42:43]
	v_add_f64_e32 v[42:43], v[42:43], v[106:107]
	s_delay_alu instid0(VALU_DEP_3)
	v_fma_f64 v[128:129], v[56:57], -0.5, v[32:33]
	v_add_f64_e32 v[56:57], v[80:81], v[88:89]
	v_add_f64_e64 v[80:81], v[80:81], -v[40:41]
	v_add_f64_e32 v[40:41], v[40:41], v[104:105]
	v_fma_f64 v[42:43], v[42:43], -0.5, v[32:33]
	v_add_f64_e32 v[82:83], v[82:83], v[84:85]
	v_fma_f64 v[58:59], v[177:178], s[22:23], v[128:129]
	v_fma_f64 v[130:131], v[56:57], -0.5, v[34:35]
	v_add_f64_e32 v[80:81], v[80:81], v[86:87]
	v_fma_f64 v[40:41], v[40:41], -0.5, v[34:35]
	v_fma_f64 v[34:35], v[179:180], s[24:25], v[42:43]
	v_fma_f64 v[42:43], v[179:180], s[22:23], v[42:43]
	v_fma_f64 v[58:59], v[179:180], s[16:17], v[58:59]
	v_fma_f64 v[56:57], v[173:174], s[24:25], v[130:131]
	v_fma_f64 v[32:33], v[175:176], s[22:23], v[40:41]
	v_fma_f64 v[34:35], v[177:178], s[16:17], v[34:35]
	v_fma_f64 v[42:43], v[177:178], s[20:21], v[42:43]
	v_fma_f64 v[40:41], v[175:176], s[24:25], v[40:41]
	v_fma_f64 v[58:59], v[124:125], s[18:19], v[58:59]
	v_fma_f64 v[56:57], v[175:176], s[20:21], v[56:57]
	v_fma_f64 v[32:33], v[173:174], s[20:21], v[32:33]
	v_fma_f64 v[34:35], v[82:83], s[18:19], v[34:35]
	v_fma_f64 v[42:43], v[82:83], s[18:19], v[42:43]
	v_fma_f64 v[40:41], v[173:174], s[16:17], v[40:41]
	v_fma_f64 v[56:57], v[126:127], s[18:19], v[56:57]
	v_fma_f64 v[32:33], v[80:81], s[18:19], v[32:33]
	s_delay_alu instid0(VALU_DEP_3) | instskip(SKIP_1) | instid1(VALU_DEP_4)
	v_fma_f64 v[40:41], v[80:81], s[18:19], v[40:41]
	v_mul_f64_e32 v[80:81], s[28:29], v[42:43]
	v_mul_f64_e32 v[72:73], s[16:17], v[56:57]
	s_delay_alu instid0(VALU_DEP_4) | instskip(NEXT) | instid1(VALU_DEP_3)
	v_mul_f64_e32 v[36:37], s[22:23], v[32:33]
	v_fma_f64 v[80:81], v[40:41], s[22:23], v[80:81]
	v_mul_f64_e32 v[40:41], s[28:29], v[40:41]
	s_delay_alu instid0(VALU_DEP_4) | instskip(SKIP_4) | instid1(VALU_DEP_4)
	v_fma_f64 v[72:73], v[58:59], s[26:27], v[72:73]
	v_mul_f64_e32 v[58:59], s[20:21], v[58:59]
	v_fma_f64 v[36:37], v[34:35], s[18:19], v[36:37]
	v_mul_f64_e32 v[34:35], s[24:25], v[34:35]
	v_fma_f64 v[82:83], v[42:43], s[24:25], v[40:41]
	v_fma_f64 v[74:75], v[56:57], s[26:27], v[58:59]
	;; [unrolled: 1-line block ×3, first 2 shown]
	s_delay_alu instid0(VALU_DEP_4) | instskip(SKIP_4) | instid1(VALU_DEP_4)
	v_fma_f64 v[38:39], v[32:33], s[18:19], v[34:35]
	v_fma_f64 v[32:33], v[183:184], s[24:25], v[136:137]
	;; [unrolled: 1-line block ×6, first 2 shown]
	s_delay_alu instid0(VALU_DEP_4) | instskip(NEXT) | instid1(VALU_DEP_4)
	v_fma_f64 v[34:35], v[185:186], s[20:21], v[34:35]
	v_fma_f64 v[58:59], v[187:188], s[20:21], v[58:59]
	s_delay_alu instid0(VALU_DEP_4) | instskip(NEXT) | instid1(VALU_DEP_4)
	v_fma_f64 v[189:190], v[92:93], s[18:19], v[56:57]
	v_fma_f64 v[84:85], v[60:61], s[18:19], v[32:33]
	;; [unrolled: 3-line block ×3, first 2 shown]
	s_delay_alu instid0(VALU_DEP_4)
	v_add_f64_e32 v[56:57], v[189:190], v[72:73]
	v_add_f64_e64 v[72:73], v[189:190], -v[72:73]
	v_add_f64_e32 v[32:33], v[84:85], v[36:37]
	v_add_f64_e64 v[36:37], v[84:85], -v[36:37]
	v_fma_f64 v[84:85], v[183:184], s[22:23], v[136:137]
	v_add_f64_e32 v[34:35], v[86:87], v[38:39]
	v_add_f64_e64 v[38:39], v[86:87], -v[38:39]
	v_fma_f64 v[86:87], v[173:174], s[22:23], v[130:131]
	v_add_f64_e64 v[136:137], v[68:69], -v[120:121]
	v_add_f64_e64 v[173:174], v[66:67], -v[118:119]
	v_add_f64_e32 v[58:59], v[191:192], v[74:75]
	v_add_f64_e64 v[74:75], v[191:192], -v[74:75]
	v_fma_f64 v[84:85], v[181:182], s[20:21], v[84:85]
	v_fma_f64 v[86:87], v[175:176], s[16:17], v[86:87]
	v_add_f64_e64 v[175:176], v[78:79], -v[110:111]
	s_delay_alu instid0(VALU_DEP_3) | instskip(SKIP_2) | instid1(VALU_DEP_3)
	v_fma_f64 v[60:61], v[60:61], s[18:19], v[84:85]
	v_fma_f64 v[84:85], v[187:188], s[24:25], v[138:139]
	v_add_f64_e64 v[138:139], v[100:101], -v[112:113]
	v_add_f64_e32 v[40:41], v[60:61], v[80:81]
	s_delay_alu instid0(VALU_DEP_3) | instskip(SKIP_3) | instid1(VALU_DEP_4)
	v_fma_f64 v[84:85], v[185:186], s[16:17], v[84:85]
	v_add_f64_e64 v[60:61], v[60:61], -v[80:81]
	v_fma_f64 v[80:81], v[177:178], s[24:25], v[128:129]
	v_add_f64_e64 v[177:178], v[64:65], -v[116:117]
	v_fma_f64 v[62:63], v[62:63], s[18:19], v[84:85]
	v_fma_f64 v[84:85], v[185:186], s[22:23], v[134:135]
	s_delay_alu instid0(VALU_DEP_4)
	v_fma_f64 v[80:81], v[179:180], s[20:21], v[80:81]
	v_add_f64_e64 v[134:135], v[102:103], -v[114:115]
	v_add_f64_e64 v[179:180], v[76:77], -v[108:109]
	v_add_f64_e32 v[42:43], v[62:63], v[82:83]
	v_add_f64_e64 v[62:63], v[62:63], -v[82:83]
	v_fma_f64 v[82:83], v[181:182], s[24:25], v[132:133]
	v_fma_f64 v[84:85], v[187:188], s[16:17], v[84:85]
	;; [unrolled: 1-line block ×3, first 2 shown]
	v_add_f64_e64 v[132:133], v[70:71], -v[122:123]
	s_delay_alu instid0(VALU_DEP_4) | instskip(NEXT) | instid1(VALU_DEP_4)
	v_fma_f64 v[82:83], v[183:184], s[20:21], v[82:83]
	v_fma_f64 v[90:91], v[94:95], s[18:19], v[84:85]
	s_delay_alu instid0(VALU_DEP_4) | instskip(NEXT) | instid1(VALU_DEP_3)
	v_mul_f64_e32 v[84:85], s[30:31], v[80:81]
	v_fma_f64 v[88:89], v[92:93], s[18:19], v[82:83]
	v_fma_f64 v[82:83], v[126:127], s[18:19], v[86:87]
	s_delay_alu instid0(VALU_DEP_1) | instskip(SKIP_1) | instid1(VALU_DEP_1)
	v_fma_f64 v[84:85], v[82:83], s[16:17], v[84:85]
	v_mul_f64_e32 v[82:83], s[30:31], v[82:83]
	v_fma_f64 v[86:87], v[80:81], s[20:21], v[82:83]
	s_delay_alu instid0(VALU_DEP_3)
	v_add_f64_e32 v[80:81], v[88:89], v[84:85]
	v_add_f64_e64 v[84:85], v[88:89], -v[84:85]
	v_add_f64_e64 v[88:89], v[64:65], -v[76:77]
	;; [unrolled: 1-line block ×4, first 2 shown]
	v_add_f64_e32 v[82:83], v[90:91], v[86:87]
	v_add_f64_e64 v[86:87], v[90:91], -v[86:87]
	v_add_f64_e64 v[90:91], v[116:117], -v[108:109]
	ds_store_b128 v9, v[0:3]
	ds_store_b128 v9, v[56:59] offset:144
	ds_store_b128 v9, v[32:35] offset:288
	;; [unrolled: 1-line block ×9, first 2 shown]
	v_add_f64_e32 v[76:77], v[64:65], v[76:77]
	v_mad_u16 v0, 0x5a, v161, v162
	v_add_f64_e32 v[104:105], v[88:89], v[90:91]
	v_add_f64_e64 v[88:89], v[66:67], -v[78:79]
	v_add_f64_e64 v[90:91], v[118:119], -v[110:111]
	;; [unrolled: 1-line block ×4, first 2 shown]
	v_and_b32_e32 v0, 0xffff, v0
	s_delay_alu instid0(VALU_DEP_1)
	v_lshlrev_b32_e32 v0, 4, v0
	scratch_store_b32 off, v0, off offset:1180 ; 4-byte Folded Spill
	v_add_f64_e32 v[106:107], v[88:89], v[90:91]
	v_add_f64_e64 v[88:89], v[70:71], -v[102:103]
	v_add_f64_e64 v[90:91], v[122:123], -v[114:115]
	v_add_f64_e32 v[78:79], v[66:67], v[78:79]
	s_delay_alu instid0(VALU_DEP_2) | instskip(SKIP_2) | instid1(VALU_DEP_1)
	v_add_f64_e32 v[124:125], v[88:89], v[90:91]
	v_add_f64_e64 v[88:89], v[68:69], -v[100:101]
	v_add_f64_e64 v[90:91], v[120:121], -v[112:113]
	v_add_f64_e32 v[126:127], v[88:89], v[90:91]
	v_add_f64_e32 v[88:89], v[102:103], v[114:115]
	s_delay_alu instid0(VALU_DEP_1) | instskip(SKIP_3) | instid1(VALU_DEP_4)
	v_fma_f64 v[128:129], v[88:89], -0.5, v[44:45]
	v_add_f64_e32 v[88:89], v[100:101], v[112:113]
	v_add_f64_e64 v[100:101], v[100:101], -v[68:69]
	v_add_f64_e32 v[68:69], v[68:69], v[120:121]
	v_fma_f64 v[90:91], v[136:137], s[22:23], v[128:129]
	s_delay_alu instid0(VALU_DEP_4) | instskip(NEXT) | instid1(VALU_DEP_3)
	v_fma_f64 v[130:131], v[88:89], -0.5, v[50:51]
	v_fma_f64 v[50:51], v[68:69], -0.5, v[50:51]
	s_delay_alu instid0(VALU_DEP_3) | instskip(NEXT) | instid1(VALU_DEP_3)
	v_fma_f64 v[90:91], v[138:139], s[16:17], v[90:91]
	v_fma_f64 v[88:89], v[132:133], s[24:25], v[130:131]
	s_delay_alu instid0(VALU_DEP_3) | instskip(SKIP_1) | instid1(VALU_DEP_4)
	v_fma_f64 v[64:65], v[134:135], s[22:23], v[50:51]
	v_fma_f64 v[50:51], v[134:135], s[24:25], v[50:51]
	;; [unrolled: 1-line block ×3, first 2 shown]
	s_delay_alu instid0(VALU_DEP_4) | instskip(NEXT) | instid1(VALU_DEP_4)
	v_fma_f64 v[88:89], v[134:135], s[20:21], v[88:89]
	v_fma_f64 v[64:65], v[132:133], s[20:21], v[64:65]
	s_delay_alu instid0(VALU_DEP_4) | instskip(NEXT) | instid1(VALU_DEP_3)
	v_fma_f64 v[50:51], v[132:133], s[16:17], v[50:51]
	v_fma_f64 v[88:89], v[126:127], s[18:19], v[88:89]
	s_delay_alu instid0(VALU_DEP_1) | instskip(NEXT) | instid1(VALU_DEP_1)
	v_mul_f64_e32 v[92:93], s[16:17], v[88:89]
	v_fma_f64 v[92:93], v[90:91], s[26:27], v[92:93]
	v_mul_f64_e32 v[90:91], s[20:21], v[90:91]
	s_delay_alu instid0(VALU_DEP_1) | instskip(SKIP_2) | instid1(VALU_DEP_2)
	v_fma_f64 v[94:95], v[88:89], s[26:27], v[90:91]
	v_fma_f64 v[88:89], v[173:174], s[22:23], v[140:141]
	;; [unrolled: 1-line block ×4, first 2 shown]
	s_delay_alu instid0(VALU_DEP_2) | instskip(NEXT) | instid1(VALU_DEP_2)
	v_fma_f64 v[90:91], v[179:180], s[20:21], v[90:91]
	v_fma_f64 v[96:97], v[104:105], s[18:19], v[88:89]
	s_delay_alu instid0(VALU_DEP_2) | instskip(NEXT) | instid1(VALU_DEP_2)
	v_fma_f64 v[98:99], v[106:107], s[18:19], v[90:91]
	v_add_f64_e32 v[88:89], v[96:97], v[92:93]
	v_add_f64_e64 v[92:93], v[96:97], -v[92:93]
	v_add_f64_e64 v[96:97], v[102:103], -v[70:71]
	v_add_f64_e32 v[70:71], v[70:71], v[122:123]
	v_add_f64_e32 v[90:91], v[98:99], v[94:95]
	v_add_f64_e64 v[94:95], v[98:99], -v[94:95]
	v_add_f64_e64 v[98:99], v[114:115], -v[122:123]
	;; [unrolled: 1-line block ×3, first 2 shown]
	v_fma_f64 v[44:45], v[70:71], -0.5, v[44:45]
	s_delay_alu instid0(VALU_DEP_3) | instskip(NEXT) | instid1(VALU_DEP_3)
	v_add_f64_e32 v[96:97], v[96:97], v[98:99]
	v_add_f64_e32 v[98:99], v[100:101], v[102:103]
	s_delay_alu instid0(VALU_DEP_3) | instskip(SKIP_1) | instid1(VALU_DEP_3)
	v_fma_f64 v[66:67], v[138:139], s[24:25], v[44:45]
	v_fma_f64 v[44:45], v[138:139], s[22:23], v[44:45]
	;; [unrolled: 1-line block ×4, first 2 shown]
	s_delay_alu instid0(VALU_DEP_4) | instskip(NEXT) | instid1(VALU_DEP_4)
	v_fma_f64 v[66:67], v[136:137], s[16:17], v[66:67]
	v_fma_f64 v[44:45], v[136:137], s[20:21], v[44:45]
	s_delay_alu instid0(VALU_DEP_4) | instskip(NEXT) | instid1(VALU_DEP_3)
	v_mul_f64_e32 v[68:69], s[22:23], v[64:65]
	v_fma_f64 v[66:67], v[96:97], s[18:19], v[66:67]
	s_delay_alu instid0(VALU_DEP_3) | instskip(NEXT) | instid1(VALU_DEP_2)
	v_fma_f64 v[44:45], v[96:97], s[18:19], v[44:45]
	v_fma_f64 v[68:69], v[66:67], s[18:19], v[68:69]
	v_mul_f64_e32 v[66:67], s[24:25], v[66:67]
	s_delay_alu instid0(VALU_DEP_1) | instskip(SKIP_2) | instid1(VALU_DEP_2)
	v_fma_f64 v[70:71], v[64:65], s[18:19], v[66:67]
	v_fma_f64 v[64:65], v[175:176], s[24:25], v[144:145]
	;; [unrolled: 1-line block ×4, first 2 shown]
	s_delay_alu instid0(VALU_DEP_2) | instskip(NEXT) | instid1(VALU_DEP_2)
	v_fma_f64 v[66:67], v[177:178], s[20:21], v[66:67]
	v_fma_f64 v[100:101], v[76:77], s[18:19], v[64:65]
	s_delay_alu instid0(VALU_DEP_2) | instskip(NEXT) | instid1(VALU_DEP_2)
	v_fma_f64 v[102:103], v[78:79], s[18:19], v[66:67]
	v_add_f64_e32 v[64:65], v[100:101], v[68:69]
	v_add_f64_e64 v[68:69], v[100:101], -v[68:69]
	v_fma_f64 v[100:101], v[175:176], s[22:23], v[144:145]
	s_delay_alu instid0(VALU_DEP_4) | instskip(SKIP_1) | instid1(VALU_DEP_3)
	v_add_f64_e32 v[66:67], v[102:103], v[70:71]
	v_add_f64_e64 v[70:71], v[102:103], -v[70:71]
	v_fma_f64 v[100:101], v[173:174], s[20:21], v[100:101]
	s_delay_alu instid0(VALU_DEP_1) | instskip(SKIP_1) | instid1(VALU_DEP_1)
	v_fma_f64 v[100:101], v[76:77], s[18:19], v[100:101]
	v_fma_f64 v[76:77], v[179:180], s[24:25], v[146:147]
	;; [unrolled: 1-line block ×3, first 2 shown]
	s_delay_alu instid0(VALU_DEP_1) | instskip(SKIP_1) | instid1(VALU_DEP_1)
	v_fma_f64 v[102:103], v[78:79], s[18:19], v[76:77]
	v_mul_f64_e32 v[76:77], s[28:29], v[44:45]
	v_fma_f64 v[96:97], v[50:51], s[22:23], v[76:77]
	v_mul_f64_e32 v[50:51], s[28:29], v[50:51]
	s_delay_alu instid0(VALU_DEP_2) | instskip(NEXT) | instid1(VALU_DEP_2)
	v_add_f64_e32 v[76:77], v[100:101], v[96:97]
	v_fma_f64 v[44:45], v[44:45], s[24:25], v[50:51]
	v_add_f64_e64 v[96:97], v[100:101], -v[96:97]
	v_fma_f64 v[100:101], v[177:178], s[22:23], v[142:143]
	v_fma_f64 v[50:51], v[173:174], s[24:25], v[140:141]
	s_delay_alu instid0(VALU_DEP_4)
	v_add_f64_e32 v[78:79], v[102:103], v[44:45]
	v_add_f64_e64 v[98:99], v[102:103], -v[44:45]
	v_fma_f64 v[44:45], v[136:137], s[24:25], v[128:129]
	v_fma_f64 v[102:103], v[132:133], s[22:23], v[130:131]
	v_fma_f64 v[100:101], v[179:180], s[16:17], v[100:101]
	v_fma_f64 v[50:51], v[175:176], s[20:21], v[50:51]
	s_delay_alu instid0(VALU_DEP_4) | instskip(NEXT) | instid1(VALU_DEP_4)
	v_fma_f64 v[44:45], v[138:139], s[20:21], v[44:45]
	v_fma_f64 v[102:103], v[134:135], s[16:17], v[102:103]
	s_delay_alu instid0(VALU_DEP_4) | instskip(NEXT) | instid1(VALU_DEP_4)
	v_fma_f64 v[106:107], v[106:107], s[18:19], v[100:101]
	v_fma_f64 v[50:51], v[104:105], s[18:19], v[50:51]
	;; [unrolled: 3-line block ×3, first 2 shown]
	s_delay_alu instid0(VALU_DEP_2) | instskip(NEXT) | instid1(VALU_DEP_1)
	v_mul_f64_e32 v[102:103], s[30:31], v[44:45]
	v_fma_f64 v[104:105], v[100:101], s[16:17], v[102:103]
	v_mul_f64_e32 v[100:101], s[30:31], v[100:101]
	s_delay_alu instid0(VALU_DEP_1) | instskip(NEXT) | instid1(VALU_DEP_3)
	v_fma_f64 v[44:45], v[44:45], s[20:21], v[100:101]
	v_add_f64_e32 v[100:101], v[50:51], v[104:105]
	v_add_f64_e64 v[104:105], v[50:51], -v[104:105]
	s_delay_alu instid0(VALU_DEP_3)
	v_add_f64_e32 v[102:103], v[106:107], v[44:45]
	v_add_f64_e64 v[106:107], v[106:107], -v[44:45]
	ds_store_b128 v0, v[148:151]
	ds_store_b128 v0, v[88:91] offset:144
	ds_store_b128 v0, v[64:67] offset:288
	;; [unrolled: 1-line block ×9, first 2 shown]
	v_add_nc_u32_e32 v0, 0xffffffa6, v195
	scratch_store_b32 off, v195, off offset:488 ; 4-byte Folded Spill
	global_wb scope:SCOPE_SE
	s_wait_storecnt_dscnt 0x0
	s_barrier_signal -1
	s_barrier_wait -1
	v_cndmask_b32_e32 v98, v0, v195, vcc_lo
	global_inv scope:SCOPE_SE
	ds_load_b128 v[2:5], v8 offset:8640
	v_mul_i32_i24_e32 v0, 0x50, v98
	v_mul_hi_i32_i24_e32 v1, 0x50, v98
	s_delay_alu instid0(VALU_DEP_2) | instskip(SKIP_1) | instid1(VALU_DEP_2)
	v_add_co_u32 v18, vcc_lo, s10, v0
	s_wait_alu 0xfffd
	v_add_co_ci_u32_e32 v19, vcc_lo, s11, v1, vcc_lo
	v_cmp_lt_u16_e64 vcc_lo, 0x59, v172
	s_clause 0x2
	global_load_b128 v[9:12], v[18:19], off offset:1392
	global_load_b128 v[14:17], v[18:19], off offset:1408
	;; [unrolled: 1-line block ×3, first 2 shown]
	s_wait_loadcnt_dscnt 0x200
	v_mul_f64_e32 v[0:1], v[4:5], v[11:12]
	scratch_store_b128 off, v[9:12], off offset:1184 ; 16-byte Folded Spill
	s_wait_loadcnt 0x1
	scratch_store_b128 off, v[14:17], off offset:1200 ; 16-byte Folded Spill
	v_fma_f64 v[0:1], v[2:3], v[9:10], -v[0:1]
	v_mul_f64_e32 v[2:3], v[2:3], v[11:12]
	s_delay_alu instid0(VALU_DEP_1) | instskip(SKIP_4) | instid1(VALU_DEP_2)
	v_fma_f64 v[2:3], v[4:5], v[9:10], v[2:3]
	ds_load_b128 v[10:13], v8 offset:17280
	s_wait_dscnt 0x0
	v_mul_f64_e32 v[4:5], v[12:13], v[16:17]
	v_mul_f64_e32 v[6:7], v[10:11], v[16:17]
	v_fma_f64 v[4:5], v[10:11], v[14:15], -v[4:5]
	s_delay_alu instid0(VALU_DEP_2) | instskip(SKIP_3) | instid1(VALU_DEP_1)
	v_fma_f64 v[6:7], v[12:13], v[14:15], v[6:7]
	ds_load_b128 v[12:15], v8 offset:25920
	s_wait_loadcnt_dscnt 0x0
	v_mul_f64_e32 v[9:10], v[14:15], v[22:23]
	v_fma_f64 v[10:11], v[12:13], v[20:21], -v[9:10]
	v_mul_lo_u16 v9, 0xb7, v160
	s_delay_alu instid0(VALU_DEP_1) | instskip(NEXT) | instid1(VALU_DEP_1)
	v_lshrrev_b16 v94, 14, v9
	v_mul_lo_u16 v9, 0x5a, v94
	s_delay_alu instid0(VALU_DEP_1) | instskip(NEXT) | instid1(VALU_DEP_1)
	v_sub_nc_u16 v9, v155, v9
	v_and_b32_e32 v95, 0xff, v9
	v_mul_u32_u24_e32 v9, 0x2d83, v159
	s_delay_alu instid0(VALU_DEP_2) | instskip(NEXT) | instid1(VALU_DEP_2)
	v_mad_co_u64_u32 v[38:39], null, 0x50, v95, s[10:11]
	v_lshrrev_b32_e32 v96, 20, v9
	s_delay_alu instid0(VALU_DEP_1)
	v_mul_lo_u16 v9, 0x5a, v96
	global_load_b128 v[26:29], v[38:39], off offset:1392
	v_mul_f64_e32 v[12:13], v[12:13], v[22:23]
	scratch_store_b128 off, v[20:23], off offset:1216 ; 16-byte Folded Spill
	s_clause 0x2
	global_load_b128 v[30:33], v[38:39], off offset:1408
	global_load_b128 v[40:43], v[38:39], off offset:1424
	;; [unrolled: 1-line block ×3, first 2 shown]
	v_sub_nc_u16 v97, v156, v9
	s_delay_alu instid0(VALU_DEP_1) | instskip(NEXT) | instid1(VALU_DEP_1)
	v_mul_lo_u16 v9, 0x50, v97
	v_and_b32_e32 v9, 0xffff, v9
	s_delay_alu instid0(VALU_DEP_1) | instskip(NEXT) | instid1(VALU_DEP_1)
	v_add_co_u32 v58, s33, s10, v9
	v_add_co_ci_u32_e64 v59, null, s11, 0, s33
	v_mul_u32_u24_e32 v9, 0x2d83, v158
	s_clause 0x1
	global_load_b128 v[50:53], v[58:59], off offset:1408
	global_load_b128 v[60:63], v[58:59], off offset:1424
	v_lshrrev_b32_e32 v99, 20, v9
	s_delay_alu instid0(VALU_DEP_1) | instskip(SKIP_4) | instid1(VALU_DEP_1)
	v_mul_lo_u16 v9, 0x5a, v99
	v_fma_f64 v[92:93], v[14:15], v[20:21], v[12:13]
	global_load_b128 v[20:23], v[18:19], off offset:1440
	ds_load_b128 v[14:17], v8 offset:34560
	v_sub_nc_u16 v108, v154, v9
	v_mul_lo_u16 v9, 0x50, v108
	s_delay_alu instid0(VALU_DEP_1) | instskip(NEXT) | instid1(VALU_DEP_1)
	v_and_b32_e32 v9, 0xffff, v9
	v_add_co_u32 v78, s33, s10, v9
	s_wait_alu 0xf1ff
	v_add_co_ci_u32_e64 v79, null, s11, 0, s33
	v_mul_u32_u24_e32 v9, 0x2d83, v157
	s_clause 0x3
	global_load_b128 v[66:69], v[78:79], off offset:1392
	global_load_b128 v[70:73], v[78:79], off offset:1408
	;; [unrolled: 1-line block ×4, first 2 shown]
	v_lshrrev_b32_e32 v109, 20, v9
	s_delay_alu instid0(VALU_DEP_1) | instskip(NEXT) | instid1(VALU_DEP_1)
	v_mul_lo_u16 v9, 0x5a, v109
	v_sub_nc_u16 v110, v153, v9
	s_delay_alu instid0(VALU_DEP_1) | instskip(NEXT) | instid1(VALU_DEP_1)
	v_mul_lo_u16 v9, 0x50, v110
	v_and_b32_e32 v9, 0xffff, v9
	s_delay_alu instid0(VALU_DEP_1)
	v_add_co_u32 v106, s33, s10, v9
	s_wait_alu 0xf1ff
	v_add_co_ci_u32_e64 v107, null, s11, 0, s33
	s_wait_alu 0xfffd
	v_cndmask_b32_e64 v9, 0, 0x21c, vcc_lo
	s_clause 0x2
	global_load_b128 v[100:103], v[106:107], off offset:1408
	global_load_b128 v[111:114], v[106:107], off offset:1424
	global_load_b128 v[115:118], v[106:107], off offset:1456
	v_add_lshl_u32 v98, v98, v9, 4
	s_wait_loadcnt 0xd
	scratch_store_b128 off, v[26:29], off offset:1264 ; 16-byte Folded Spill
	s_wait_loadcnt 0xc
	scratch_store_b128 off, v[30:33], off offset:1280 ; 16-byte Folded Spill
	s_wait_loadcnt 0xb
	scratch_store_b128 off, v[40:43], off offset:1296 ; 16-byte Folded Spill
	s_wait_loadcnt 0xa
	scratch_store_b128 off, v[44:47], off offset:1328 ; 16-byte Folded Spill
	s_wait_loadcnt 0x9
	scratch_store_b128 off, v[50:53], off offset:1360 ; 16-byte Folded Spill
	s_wait_loadcnt 0x8
	scratch_store_b128 off, v[60:63], off offset:1376 ; 16-byte Folded Spill
	s_wait_loadcnt_dscnt 0x700
	v_mul_f64_e32 v[12:13], v[16:17], v[22:23]
	scratch_store_b128 off, v[20:23], off offset:1232 ; 16-byte Folded Spill
	s_wait_loadcnt 0x6
	scratch_store_b128 off, v[66:69], off offset:1428 ; 16-byte Folded Spill
	s_wait_loadcnt 0x5
	;; [unrolled: 2-line block ×4, first 2 shown]
	scratch_store_b128 off, v[84:87], off offset:1492 ; 16-byte Folded Spill
	v_fma_f64 v[12:13], v[14:15], v[20:21], -v[12:13]
	v_mul_f64_e32 v[14:15], v[14:15], v[22:23]
	global_load_b128 v[22:25], v[18:19], off offset:1456
	s_wait_loadcnt 0x3
	scratch_store_b128 off, v[100:103], off offset:1524 ; 16-byte Folded Spill
	s_wait_loadcnt 0x2
	scratch_store_b128 off, v[111:114], off offset:1540 ; 16-byte Folded Spill
	;; [unrolled: 2-line block ×3, first 2 shown]
	v_fma_f64 v[14:15], v[16:17], v[20:21], v[14:15]
	ds_load_b128 v[16:19], v8 offset:43200
	s_wait_loadcnt_dscnt 0x0
	v_mul_f64_e32 v[20:21], v[18:19], v[24:25]
	scratch_store_b128 off, v[22:25], off offset:1248 ; 16-byte Folded Spill
	v_fma_f64 v[20:21], v[16:17], v[22:23], -v[20:21]
	v_mul_f64_e32 v[16:17], v[16:17], v[24:25]
	s_delay_alu instid0(VALU_DEP_1) | instskip(SKIP_3) | instid1(VALU_DEP_1)
	v_fma_f64 v[18:19], v[18:19], v[22:23], v[16:17]
	ds_load_b128 v[22:25], v8 offset:10368
	s_wait_dscnt 0x0
	v_mul_f64_e32 v[16:17], v[24:25], v[28:29]
	v_fma_f64 v[16:17], v[22:23], v[26:27], -v[16:17]
	v_mul_f64_e32 v[22:23], v[22:23], v[28:29]
	s_delay_alu instid0(VALU_DEP_1) | instskip(SKIP_3) | instid1(VALU_DEP_1)
	v_fma_f64 v[22:23], v[24:25], v[26:27], v[22:23]
	ds_load_b128 v[26:29], v8 offset:19008
	s_wait_dscnt 0x0
	v_mul_f64_e32 v[24:25], v[28:29], v[32:33]
	v_fma_f64 v[24:25], v[26:27], v[30:31], -v[24:25]
	v_mul_f64_e32 v[26:27], v[26:27], v[32:33]
	ds_load_b128 v[32:35], v8 offset:27648
	v_fma_f64 v[26:27], v[28:29], v[30:31], v[26:27]
	s_wait_dscnt 0x0
	v_mul_f64_e32 v[28:29], v[34:35], v[42:43]
	s_delay_alu instid0(VALU_DEP_1) | instskip(SKIP_1) | instid1(VALU_DEP_1)
	v_fma_f64 v[30:31], v[32:33], v[40:41], -v[28:29]
	v_mul_f64_e32 v[28:29], v[32:33], v[42:43]
	v_fma_f64 v[28:29], v[34:35], v[40:41], v[28:29]
	global_load_b128 v[40:43], v[38:39], off offset:1440
	ds_load_b128 v[34:37], v8 offset:36288
	s_wait_loadcnt_dscnt 0x0
	v_mul_f64_e32 v[32:33], v[36:37], v[42:43]
	scratch_store_b128 off, v[40:43], off offset:1312 ; 16-byte Folded Spill
	v_fma_f64 v[32:33], v[34:35], v[40:41], -v[32:33]
	v_mul_f64_e32 v[34:35], v[34:35], v[42:43]
	s_delay_alu instid0(VALU_DEP_2) | instskip(NEXT) | instid1(VALU_DEP_2)
	v_add_f64_e32 v[125:126], v[24:25], v[32:33]
	v_fma_f64 v[34:35], v[36:37], v[40:41], v[34:35]
	ds_load_b128 v[40:43], v8 offset:44928
	s_wait_dscnt 0x0
	v_mul_f64_e32 v[36:37], v[42:43], v[46:47]
	s_delay_alu instid0(VALU_DEP_1)
	v_fma_f64 v[38:39], v[40:41], v[44:45], -v[36:37]
	v_mul_f64_e32 v[36:37], v[40:41], v[46:47]
	global_load_b128 v[46:49], v[58:59], off offset:1392
	v_fma_f64 v[36:37], v[42:43], v[44:45], v[36:37]
	ds_load_b128 v[42:45], v8 offset:12096
	s_wait_loadcnt_dscnt 0x0
	v_mul_f64_e32 v[40:41], v[44:45], v[48:49]
	scratch_store_b128 off, v[46:49], off offset:1344 ; 16-byte Folded Spill
	v_fma_f64 v[40:41], v[42:43], v[46:47], -v[40:41]
	v_mul_f64_e32 v[42:43], v[42:43], v[48:49]
	s_delay_alu instid0(VALU_DEP_1) | instskip(SKIP_3) | instid1(VALU_DEP_1)
	v_fma_f64 v[42:43], v[44:45], v[46:47], v[42:43]
	ds_load_b128 v[46:49], v8 offset:20736
	s_wait_dscnt 0x0
	v_mul_f64_e32 v[44:45], v[48:49], v[52:53]
	v_fma_f64 v[44:45], v[46:47], v[50:51], -v[44:45]
	v_mul_f64_e32 v[46:47], v[46:47], v[52:53]
	ds_load_b128 v[52:55], v8 offset:29376
	v_fma_f64 v[46:47], v[48:49], v[50:51], v[46:47]
	s_wait_dscnt 0x0
	v_mul_f64_e32 v[48:49], v[54:55], v[62:63]
	s_delay_alu instid0(VALU_DEP_1) | instskip(SKIP_1) | instid1(VALU_DEP_1)
	v_fma_f64 v[50:51], v[52:53], v[60:61], -v[48:49]
	v_mul_f64_e32 v[48:49], v[52:53], v[62:63]
	v_fma_f64 v[48:49], v[54:55], v[60:61], v[48:49]
	global_load_b128 v[60:63], v[58:59], off offset:1440
	ds_load_b128 v[54:57], v8 offset:38016
	s_wait_loadcnt_dscnt 0x0
	v_mul_f64_e32 v[52:53], v[56:57], v[62:63]
	scratch_store_b128 off, v[60:63], off offset:1392 ; 16-byte Folded Spill
	v_fma_f64 v[52:53], v[54:55], v[60:61], -v[52:53]
	v_mul_f64_e32 v[54:55], v[54:55], v[62:63]
	global_load_b128 v[62:65], v[58:59], off offset:1456
	v_add_f64_e32 v[134:135], v[44:45], v[52:53]
	v_fma_f64 v[54:55], v[56:57], v[60:61], v[54:55]
	ds_load_b128 v[56:59], v8 offset:46656
	s_wait_loadcnt_dscnt 0x0
	v_mul_f64_e32 v[60:61], v[58:59], v[64:65]
	scratch_store_b128 off, v[62:65], off offset:1412 ; 16-byte Folded Spill
	v_fma_f64 v[60:61], v[56:57], v[62:63], -v[60:61]
	v_mul_f64_e32 v[56:57], v[56:57], v[64:65]
	s_delay_alu instid0(VALU_DEP_1) | instskip(SKIP_3) | instid1(VALU_DEP_1)
	v_fma_f64 v[58:59], v[58:59], v[62:63], v[56:57]
	ds_load_b128 v[62:65], v8 offset:13824
	s_wait_dscnt 0x0
	v_mul_f64_e32 v[56:57], v[64:65], v[68:69]
	v_fma_f64 v[56:57], v[62:63], v[66:67], -v[56:57]
	v_mul_f64_e32 v[62:63], v[62:63], v[68:69]
	s_delay_alu instid0(VALU_DEP_1) | instskip(SKIP_3) | instid1(VALU_DEP_1)
	v_fma_f64 v[62:63], v[64:65], v[66:67], v[62:63]
	ds_load_b128 v[66:69], v8 offset:22464
	s_wait_dscnt 0x0
	v_mul_f64_e32 v[64:65], v[68:69], v[72:73]
	v_fma_f64 v[64:65], v[66:67], v[70:71], -v[64:65]
	v_mul_f64_e32 v[66:67], v[66:67], v[72:73]
	ds_load_b128 v[72:75], v8 offset:31104
	v_fma_f64 v[66:67], v[68:69], v[70:71], v[66:67]
	s_wait_dscnt 0x0
	v_mul_f64_e32 v[68:69], v[74:75], v[82:83]
	s_delay_alu instid0(VALU_DEP_1) | instskip(SKIP_1) | instid1(VALU_DEP_1)
	v_fma_f64 v[70:71], v[72:73], v[80:81], -v[68:69]
	v_mul_f64_e32 v[68:69], v[72:73], v[82:83]
	v_fma_f64 v[68:69], v[74:75], v[80:81], v[68:69]
	global_load_b128 v[80:83], v[78:79], off offset:1440
	ds_load_b128 v[74:77], v8 offset:39744
	s_wait_loadcnt_dscnt 0x0
	v_mul_f64_e32 v[72:73], v[76:77], v[82:83]
	scratch_store_b128 off, v[80:83], off offset:1476 ; 16-byte Folded Spill
	v_fma_f64 v[72:73], v[74:75], v[80:81], -v[72:73]
	v_mul_f64_e32 v[74:75], v[74:75], v[82:83]
	s_delay_alu instid0(VALU_DEP_2) | instskip(NEXT) | instid1(VALU_DEP_2)
	v_add_f64_e32 v[142:143], v[64:65], v[72:73]
	v_fma_f64 v[74:75], v[76:77], v[80:81], v[74:75]
	ds_load_b128 v[80:83], v8 offset:48384
	s_wait_dscnt 0x0
	v_mul_f64_e32 v[76:77], v[82:83], v[86:87]
	s_delay_alu instid0(VALU_DEP_1)
	v_fma_f64 v[78:79], v[80:81], v[84:85], -v[76:77]
	v_mul_f64_e32 v[76:77], v[80:81], v[86:87]
	global_load_b128 v[86:89], v[106:107], off offset:1392
	v_fma_f64 v[76:77], v[82:83], v[84:85], v[76:77]
	ds_load_b128 v[82:85], v8 offset:15552
	s_wait_loadcnt_dscnt 0x0
	v_mul_f64_e32 v[80:81], v[84:85], v[88:89]
	scratch_store_b128 off, v[86:89], off offset:1508 ; 16-byte Folded Spill
	v_fma_f64 v[80:81], v[82:83], v[86:87], -v[80:81]
	v_mul_f64_e32 v[82:83], v[82:83], v[88:89]
	s_delay_alu instid0(VALU_DEP_1) | instskip(SKIP_3) | instid1(VALU_DEP_1)
	v_fma_f64 v[82:83], v[84:85], v[86:87], v[82:83]
	ds_load_b128 v[86:89], v8 offset:24192
	s_wait_dscnt 0x0
	v_mul_f64_e32 v[84:85], v[88:89], v[102:103]
	v_fma_f64 v[84:85], v[86:87], v[100:101], -v[84:85]
	v_mul_f64_e32 v[86:87], v[86:87], v[102:103]
	s_delay_alu instid0(VALU_DEP_1) | instskip(SKIP_3) | instid1(VALU_DEP_1)
	v_fma_f64 v[86:87], v[88:89], v[100:101], v[86:87]
	ds_load_b128 v[100:103], v8 offset:32832
	s_wait_dscnt 0x0
	v_mul_f64_e32 v[88:89], v[102:103], v[113:114]
	v_fma_f64 v[90:91], v[100:101], v[111:112], -v[88:89]
	v_mul_f64_e32 v[88:89], v[100:101], v[113:114]
	s_delay_alu instid0(VALU_DEP_1)
	v_fma_f64 v[88:89], v[102:103], v[111:112], v[88:89]
	global_load_b128 v[111:114], v[106:107], off offset:1440
	ds_load_b128 v[102:105], v8 offset:41472
	s_wait_loadcnt_dscnt 0x0
	v_mul_f64_e32 v[100:101], v[104:105], v[113:114]
	scratch_store_b128 off, v[111:114], off offset:1556 ; 16-byte Folded Spill
	v_fma_f64 v[100:101], v[102:103], v[111:112], -v[100:101]
	v_mul_f64_e32 v[102:103], v[102:103], v[113:114]
	s_delay_alu instid0(VALU_DEP_2) | instskip(NEXT) | instid1(VALU_DEP_2)
	v_add_f64_e32 v[153:154], v[84:85], v[100:101]
	v_fma_f64 v[102:103], v[104:105], v[111:112], v[102:103]
	ds_load_b128 v[111:114], v8 offset:50112
	s_wait_dscnt 0x0
	v_mul_f64_e32 v[104:105], v[113:114], v[117:118]
	s_delay_alu instid0(VALU_DEP_1) | instskip(SKIP_1) | instid1(VALU_DEP_1)
	v_fma_f64 v[106:107], v[111:112], v[115:116], -v[104:105]
	v_mul_f64_e32 v[104:105], v[111:112], v[117:118]
	v_fma_f64 v[104:105], v[113:114], v[115:116], v[104:105]
	v_add_f64_e32 v[115:116], v[4:5], v[12:13]
	ds_load_b128 v[111:114], v8
	s_wait_dscnt 0x0
	v_fma_f64 v[123:124], v[115:116], -0.5, v[111:112]
	v_add_f64_e32 v[115:116], v[6:7], v[14:15]
	v_add_f64_e32 v[111:112], v[111:112], v[4:5]
	s_delay_alu instid0(VALU_DEP_2) | instskip(NEXT) | instid1(VALU_DEP_2)
	v_fma_f64 v[150:151], v[115:116], -0.5, v[113:114]
	v_add_f64_e32 v[115:116], v[111:112], v[12:13]
	v_add_f64_e32 v[111:112], v[0:1], v[10:11]
	;; [unrolled: 1-line block ×3, first 2 shown]
	s_delay_alu instid0(VALU_DEP_2) | instskip(SKIP_1) | instid1(VALU_DEP_3)
	v_add_f64_e32 v[119:120], v[111:112], v[20:21]
	v_add_f64_e32 v[111:112], v[2:3], v[92:93]
	;; [unrolled: 1-line block ×3, first 2 shown]
	v_add_f64_e64 v[14:15], v[6:7], -v[14:15]
	s_delay_alu instid0(VALU_DEP_3) | instskip(SKIP_2) | instid1(VALU_DEP_3)
	v_add_f64_e32 v[121:122], v[111:112], v[18:19]
	v_add_f64_e32 v[111:112], v[115:116], v[119:120]
	v_add_f64_e64 v[115:116], v[115:116], -v[119:120]
	v_add_f64_e32 v[113:114], v[117:118], v[121:122]
	v_add_f64_e64 v[117:118], v[117:118], -v[121:122]
	ds_load_b128 v[119:122], v8 offset:1728
	s_wait_dscnt 0x0
	v_fma_f64 v[157:158], v[125:126], -0.5, v[119:120]
	v_add_f64_e32 v[125:126], v[26:27], v[34:35]
	v_add_f64_e32 v[119:120], v[119:120], v[24:25]
	s_delay_alu instid0(VALU_DEP_2) | instskip(NEXT) | instid1(VALU_DEP_2)
	v_fma_f64 v[159:160], v[125:126], -0.5, v[121:122]
	v_add_f64_e32 v[125:126], v[119:120], v[32:33]
	v_add_f64_e32 v[119:120], v[16:17], v[30:31]
	;; [unrolled: 1-line block ×3, first 2 shown]
	v_add_f64_e64 v[26:27], v[26:27], -v[34:35]
	v_add_f64_e64 v[32:33], v[24:25], -v[32:33]
	s_delay_alu instid0(VALU_DEP_4) | instskip(SKIP_2) | instid1(VALU_DEP_2)
	v_add_f64_e32 v[130:131], v[119:120], v[38:39]
	v_add_f64_e32 v[119:120], v[22:23], v[28:29]
	;; [unrolled: 1-line block ×4, first 2 shown]
	s_delay_alu instid0(VALU_DEP_4) | instskip(SKIP_1) | instid1(VALU_DEP_3)
	v_add_f64_e32 v[119:120], v[125:126], v[130:131]
	v_add_f64_e64 v[126:127], v[125:126], -v[130:131]
	v_add_f64_e32 v[121:122], v[128:129], v[132:133]
	v_add_f64_e64 v[128:129], v[128:129], -v[132:133]
	ds_load_b128 v[130:133], v8 offset:3456
	s_wait_dscnt 0x0
	v_fma_f64 v[161:162], v[134:135], -0.5, v[130:131]
	v_add_f64_e32 v[134:135], v[46:47], v[54:55]
	v_add_f64_e32 v[130:131], v[130:131], v[44:45]
	v_add_f64_e64 v[44:45], v[44:45], -v[52:53]
	s_delay_alu instid0(VALU_DEP_3) | instskip(NEXT) | instid1(VALU_DEP_3)
	v_fma_f64 v[163:164], v[134:135], -0.5, v[132:133]
	v_add_f64_e32 v[134:135], v[130:131], v[52:53]
	v_add_f64_e32 v[130:131], v[40:41], v[50:51]
	;; [unrolled: 1-line block ×3, first 2 shown]
	v_add_f64_e64 v[46:47], v[46:47], -v[54:55]
	s_delay_alu instid0(VALU_DEP_3) | instskip(SKIP_1) | instid1(VALU_DEP_4)
	v_add_f64_e32 v[138:139], v[130:131], v[60:61]
	v_add_f64_e32 v[130:131], v[42:43], v[48:49]
	;; [unrolled: 1-line block ×3, first 2 shown]
	s_delay_alu instid0(VALU_DEP_4) | instskip(SKIP_1) | instid1(VALU_DEP_4)
	v_fma_f64 v[54:55], v[46:47], s[12:13], v[161:162]
	v_fma_f64 v[46:47], v[46:47], s[14:15], v[161:162]
	v_add_f64_e32 v[140:141], v[130:131], v[58:59]
	v_add_f64_e32 v[130:131], v[134:135], v[138:139]
	v_add_f64_e64 v[134:135], v[134:135], -v[138:139]
	s_delay_alu instid0(VALU_DEP_3)
	v_add_f64_e32 v[132:133], v[136:137], v[140:141]
	v_add_f64_e64 v[136:137], v[136:137], -v[140:141]
	ds_load_b128 v[138:141], v8 offset:5184
	s_wait_dscnt 0x0
	v_fma_f64 v[165:166], v[142:143], -0.5, v[138:139]
	v_add_f64_e32 v[142:143], v[66:67], v[74:75]
	v_add_f64_e32 v[138:139], v[138:139], v[64:65]
	v_add_f64_e64 v[64:65], v[64:65], -v[72:73]
	s_delay_alu instid0(VALU_DEP_3) | instskip(NEXT) | instid1(VALU_DEP_3)
	v_fma_f64 v[167:168], v[142:143], -0.5, v[140:141]
	v_add_f64_e32 v[142:143], v[138:139], v[72:73]
	v_add_f64_e32 v[138:139], v[56:57], v[70:71]
	;; [unrolled: 1-line block ×3, first 2 shown]
	s_delay_alu instid0(VALU_DEP_4) | instskip(SKIP_1) | instid1(VALU_DEP_4)
	v_fma_f64 v[72:73], v[64:65], s[14:15], v[167:168]
	v_fma_f64 v[64:65], v[64:65], s[12:13], v[167:168]
	v_add_f64_e32 v[146:147], v[138:139], v[78:79]
	v_add_f64_e32 v[138:139], v[62:63], v[68:69]
	;; [unrolled: 1-line block ×3, first 2 shown]
	s_delay_alu instid0(VALU_DEP_2) | instskip(NEXT) | instid1(VALU_DEP_4)
	v_add_f64_e32 v[148:149], v[138:139], v[76:77]
	v_add_f64_e32 v[138:139], v[142:143], v[146:147]
	v_add_f64_e64 v[142:143], v[142:143], -v[146:147]
	s_delay_alu instid0(VALU_DEP_3)
	v_add_f64_e32 v[140:141], v[144:145], v[148:149]
	v_add_f64_e64 v[144:145], v[144:145], -v[148:149]
	ds_load_b128 v[146:149], v8 offset:6912
	global_wb scope:SCOPE_SE
	s_wait_storecnt_dscnt 0x0
	s_barrier_signal -1
	s_barrier_wait -1
	global_inv scope:SCOPE_SE
	ds_store_b128 v98, v[111:114]
	ds_store_b128 v98, v[115:118] offset:4320
	v_add_f64_e32 v[111:112], v[10:11], v[20:21]
	v_add_f64_e64 v[9:10], v[10:11], -v[20:21]
	v_add_f64_e32 v[20:21], v[92:93], v[18:19]
	v_add_f64_e64 v[18:19], v[92:93], -v[18:19]
	v_add_f64_e64 v[11:12], v[4:5], -v[12:13]
	scratch_store_b32 off, v98, off offset:1812 ; 4-byte Folded Spill
	v_fma_f64 v[169:170], v[153:154], -0.5, v[146:147]
	v_add_f64_e32 v[153:154], v[86:87], v[102:103]
	v_add_f64_e32 v[146:147], v[146:147], v[84:85]
	v_fma_f64 v[92:93], v[111:112], -0.5, v[0:1]
	v_fma_f64 v[111:112], v[14:15], s[12:13], v[123:124]
	v_fma_f64 v[20:21], v[20:21], -0.5, v[2:3]
	v_fma_f64 v[14:15], v[14:15], s[14:15], v[123:124]
	v_fma_f64 v[113:114], v[11:12], s[14:15], v[150:151]
	v_fma_f64 v[173:174], v[153:154], -0.5, v[148:149]
	v_add_f64_e32 v[153:154], v[146:147], v[100:101]
	v_add_f64_e32 v[146:147], v[80:81], v[90:91]
	;; [unrolled: 1-line block ×3, first 2 shown]
	v_fma_f64 v[2:3], v[18:19], s[12:13], v[92:93]
	v_fma_f64 v[18:19], v[18:19], s[14:15], v[92:93]
	;; [unrolled: 1-line block ×5, first 2 shown]
	v_add_f64_e32 v[175:176], v[146:147], v[106:107]
	v_add_f64_e32 v[146:147], v[82:83], v[88:89]
	;; [unrolled: 1-line block ×3, first 2 shown]
	v_mul_f64_e32 v[11:12], -0.5, v[18:19]
	v_mul_f64_e32 v[4:5], s[12:13], v[0:1]
	s_delay_alu instid0(VALU_DEP_4)
	v_add_f64_e32 v[177:178], v[146:147], v[104:105]
	v_add_f64_e32 v[146:147], v[153:154], v[175:176]
	v_add_f64_e64 v[153:154], v[153:154], -v[175:176]
	v_fma_f64 v[20:21], v[9:10], s[12:13], v[11:12]
	v_fma_f64 v[4:5], v[2:3], 0.5, v[4:5]
	v_mul_f64_e32 v[2:3], s[14:15], v[2:3]
	v_mul_f64_e32 v[9:10], -0.5, v[9:10]
	v_add_f64_e32 v[148:149], v[155:156], v[177:178]
	v_add_f64_e64 v[155:156], v[155:156], -v[177:178]
	s_delay_alu instid0(VALU_DEP_4)
	v_fma_f64 v[6:7], v[0:1], 0.5, v[2:3]
	v_add_f64_e32 v[0:1], v[111:112], v[4:5]
	v_add_f64_e64 v[4:5], v[111:112], -v[4:5]
	v_fma_f64 v[111:112], v[18:19], s[14:15], v[9:10]
	v_add_f64_e32 v[10:11], v[14:15], v[20:21]
	v_add_f64_e64 v[18:19], v[14:15], -v[20:21]
	v_add_f64_e32 v[14:15], v[30:31], v[38:39]
	v_add_f64_e64 v[30:31], v[30:31], -v[38:39]
	;; [unrolled: 2-line block ×3, first 2 shown]
	v_fma_f64 v[36:37], v[26:27], s[12:13], v[157:158]
	v_add_f64_e32 v[2:3], v[113:114], v[6:7]
	v_add_f64_e64 v[6:7], v[113:114], -v[6:7]
	v_add_f64_e32 v[12:13], v[92:93], v[111:112]
	v_add_f64_e64 v[20:21], v[92:93], -v[111:112]
	v_fma_f64 v[92:93], v[32:33], s[14:15], v[159:160]
	v_fma_f64 v[34:35], v[14:15], -0.5, v[16:17]
	v_fma_f64 v[32:33], v[32:33], s[12:13], v[159:160]
	v_fma_f64 v[38:39], v[38:39], -0.5, v[22:23]
	ds_store_b128 v98, v[0:3] offset:1440
	ds_store_b128 v98, v[10:13] offset:2880
	;; [unrolled: 1-line block ×4, first 2 shown]
	v_and_b32_e32 v0, 0xffff, v94
	v_mad_co_u64_u32 v[9:10], null, 0x50, v195, s[10:11]
	v_fma_f64 v[16:17], v[28:29], s[12:13], v[34:35]
	v_fma_f64 v[28:29], v[28:29], s[14:15], v[34:35]
	;; [unrolled: 1-line block ×5, first 2 shown]
	v_mul_u32_u24_e32 v0, 0x21c, v0
	s_delay_alu instid0(VALU_DEP_1) | instskip(SKIP_3) | instid1(VALU_DEP_2)
	v_add_lshl_u32 v0, v0, v95, 4
	scratch_store_b32 off, v0, off offset:1792 ; 4-byte Folded Spill
	v_mul_f64_e32 v[30:31], -0.5, v[28:29]
	v_mul_f64_e32 v[22:23], s[12:13], v[14:15]
	v_fma_f64 v[30:31], v[26:27], s[12:13], v[30:31]
	s_delay_alu instid0(VALU_DEP_2) | instskip(SKIP_2) | instid1(VALU_DEP_2)
	v_fma_f64 v[22:23], v[16:17], 0.5, v[22:23]
	v_mul_f64_e32 v[16:17], s[14:15], v[16:17]
	v_mul_f64_e32 v[26:27], -0.5, v[26:27]
	v_fma_f64 v[24:25], v[14:15], 0.5, v[16:17]
	s_delay_alu instid0(VALU_DEP_4) | instskip(SKIP_1) | instid1(VALU_DEP_4)
	v_add_f64_e32 v[14:15], v[36:37], v[22:23]
	v_add_f64_e64 v[22:23], v[36:37], -v[22:23]
	v_fma_f64 v[36:37], v[28:29], s[14:15], v[26:27]
	v_add_f64_e32 v[26:27], v[34:35], v[30:31]
	v_add_f64_e64 v[30:31], v[34:35], -v[30:31]
	v_add_f64_e32 v[34:35], v[50:51], v[60:61]
	v_add_f64_e64 v[50:51], v[50:51], -v[60:61]
	;; [unrolled: 2-line block ×5, first 2 shown]
	v_fma_f64 v[52:53], v[34:35], -0.5, v[40:41]
	v_fma_f64 v[58:59], v[44:45], s[14:15], v[163:164]
	ds_store_b128 v0, v[119:122]
	ds_store_b128 v0, v[14:17] offset:1440
	ds_store_b128 v0, v[26:29] offset:2880
	;; [unrolled: 1-line block ×5, first 2 shown]
	v_mad_u16 v0, 0x21c, v96, v97
	v_fma_f64 v[42:43], v[36:37], -0.5, v[42:43]
	v_fma_f64 v[36:37], v[48:49], s[12:13], v[52:53]
	v_fma_f64 v[48:49], v[48:49], s[14:15], v[52:53]
	;; [unrolled: 1-line block ×3, first 2 shown]
	v_and_b32_e32 v0, 0xffff, v0
	s_delay_alu instid0(VALU_DEP_1) | instskip(SKIP_4) | instid1(VALU_DEP_3)
	v_lshlrev_b32_e32 v0, 4, v0
	scratch_store_b32 off, v0, off offset:1756 ; 4-byte Folded Spill
	v_fma_f64 v[34:35], v[50:51], s[14:15], v[42:43]
	v_fma_f64 v[42:43], v[50:51], s[12:13], v[42:43]
	v_mul_f64_e32 v[44:45], -0.5, v[48:49]
	v_mul_f64_e32 v[38:39], s[12:13], v[34:35]
	s_delay_alu instid0(VALU_DEP_2) | instskip(SKIP_1) | instid1(VALU_DEP_3)
	v_fma_f64 v[50:51], v[42:43], s[12:13], v[44:45]
	v_mul_f64_e32 v[42:43], -0.5, v[42:43]
	v_fma_f64 v[38:39], v[36:37], 0.5, v[38:39]
	v_mul_f64_e32 v[36:37], s[14:15], v[36:37]
	s_delay_alu instid0(VALU_DEP_3)
	v_fma_f64 v[48:49], v[48:49], s[14:15], v[42:43]
	v_add_f64_e32 v[42:43], v[46:47], v[50:51]
	v_add_f64_e64 v[46:47], v[46:47], -v[50:51]
	v_add_f64_e32 v[50:51], v[70:71], v[78:79]
	v_fma_f64 v[40:41], v[34:35], 0.5, v[36:37]
	v_add_f64_e32 v[34:35], v[54:55], v[38:39]
	v_add_f64_e64 v[38:39], v[54:55], -v[38:39]
	v_add_f64_e32 v[44:45], v[52:53], v[48:49]
	v_add_f64_e64 v[48:49], v[52:53], -v[48:49]
	v_add_f64_e32 v[52:53], v[68:69], v[76:77]
	v_add_f64_e32 v[36:37], v[58:59], v[40:41]
	v_add_f64_e64 v[40:41], v[58:59], -v[40:41]
	v_add_f64_e64 v[58:59], v[70:71], -v[78:79]
	;; [unrolled: 1-line block ×3, first 2 shown]
	ds_store_b128 v0, v[130:133]
	ds_store_b128 v0, v[34:37] offset:1440
	ds_store_b128 v0, v[42:45] offset:2880
	;; [unrolled: 1-line block ×5, first 2 shown]
	v_fma_f64 v[60:61], v[52:53], -0.5, v[62:63]
	v_add_f64_e64 v[62:63], v[66:67], -v[74:75]
	v_add_f64_e64 v[66:67], v[68:69], -v[76:77]
	v_fma_f64 v[68:69], v[50:51], -0.5, v[56:57]
	v_add_f64_e64 v[74:75], v[90:91], -v[106:107]
	v_fma_f64 v[86:87], v[78:79], s[12:13], v[169:170]
	v_fma_f64 v[78:79], v[78:79], s[14:15], v[169:170]
	v_mad_u16 v0, 0x21c, v99, v108
	s_delay_alu instid0(VALU_DEP_1) | instskip(NEXT) | instid1(VALU_DEP_1)
	v_and_b32_e32 v0, 0xffff, v0
	v_lshlrev_b32_e32 v0, 4, v0
	scratch_store_b32 off, v0, off offset:1672 ; 4-byte Folded Spill
	v_fma_f64 v[50:51], v[58:59], s[14:15], v[60:61]
	v_fma_f64 v[58:59], v[58:59], s[12:13], v[60:61]
	;; [unrolled: 1-line block ×6, first 2 shown]
	v_mul_f64_e32 v[54:55], s[12:13], v[50:51]
	s_delay_alu instid0(VALU_DEP_3) | instskip(NEXT) | instid1(VALU_DEP_2)
	v_mul_f64_e32 v[60:61], -0.5, v[66:67]
	v_fma_f64 v[54:55], v[52:53], 0.5, v[54:55]
	v_mul_f64_e32 v[52:53], s[14:15], v[52:53]
	s_delay_alu instid0(VALU_DEP_3) | instskip(SKIP_1) | instid1(VALU_DEP_3)
	v_fma_f64 v[68:69], v[58:59], s[12:13], v[60:61]
	v_mul_f64_e32 v[58:59], -0.5, v[58:59]
	v_fma_f64 v[56:57], v[50:51], 0.5, v[52:53]
	v_add_f64_e32 v[50:51], v[70:71], v[54:55]
	v_add_f64_e64 v[54:55], v[70:71], -v[54:55]
	s_delay_alu instid0(VALU_DEP_4)
	v_fma_f64 v[66:67], v[66:67], s[14:15], v[58:59]
	v_add_f64_e32 v[58:59], v[62:63], v[68:69]
	v_add_f64_e64 v[62:63], v[62:63], -v[68:69]
	v_add_f64_e32 v[68:69], v[88:89], v[104:105]
	v_add_f64_e32 v[52:53], v[72:73], v[56:57]
	v_add_f64_e64 v[56:57], v[72:73], -v[56:57]
	v_add_f64_e32 v[60:61], v[64:65], v[66:67]
	v_add_f64_e64 v[64:65], v[64:65], -v[66:67]
	v_add_f64_e32 v[66:67], v[90:91], v[106:107]
	v_fma_f64 v[76:77], v[68:69], -0.5, v[82:83]
	v_add_f64_e64 v[82:83], v[84:85], -v[100:101]
	v_add_f64_e64 v[84:85], v[88:89], -v[104:105]
	ds_store_b128 v0, v[138:141]
	ds_store_b128 v0, v[50:53] offset:1440
	ds_store_b128 v0, v[58:61] offset:2880
	;; [unrolled: 1-line block ×5, first 2 shown]
	v_mad_u16 v0, 0x21c, v109, v110
	v_fma_f64 v[80:81], v[66:67], -0.5, v[80:81]
	v_fma_f64 v[66:67], v[74:75], s[14:15], v[76:77]
	v_fma_f64 v[74:75], v[74:75], s[12:13], v[76:77]
	;; [unrolled: 1-line block ×4, first 2 shown]
	v_and_b32_e32 v0, 0xffff, v0
	s_delay_alu instid0(VALU_DEP_1) | instskip(SKIP_3) | instid1(VALU_DEP_2)
	v_lshlrev_b32_e32 v163, 4, v0
	v_fma_f64 v[68:69], v[84:85], s[12:13], v[80:81]
	v_fma_f64 v[80:81], v[84:85], s[14:15], v[80:81]
	v_mul_f64_e32 v[70:71], s[12:13], v[66:67]
	v_mul_f64_e32 v[76:77], -0.5, v[80:81]
	s_delay_alu instid0(VALU_DEP_2) | instskip(SKIP_1) | instid1(VALU_DEP_3)
	v_fma_f64 v[70:71], v[68:69], 0.5, v[70:71]
	v_mul_f64_e32 v[68:69], s[14:15], v[68:69]
	v_fma_f64 v[84:85], v[74:75], s[12:13], v[76:77]
	v_mul_f64_e32 v[74:75], -0.5, v[74:75]
	s_delay_alu instid0(VALU_DEP_3) | instskip(SKIP_2) | instid1(VALU_DEP_4)
	v_fma_f64 v[72:73], v[66:67], 0.5, v[68:69]
	v_add_f64_e32 v[66:67], v[86:87], v[70:71]
	v_add_f64_e64 v[70:71], v[86:87], -v[70:71]
	v_fma_f64 v[80:81], v[80:81], s[14:15], v[74:75]
	s_delay_alu instid0(VALU_DEP_4)
	v_add_f64_e32 v[68:69], v[88:89], v[72:73]
	v_add_f64_e32 v[74:75], v[78:79], v[84:85]
	v_add_f64_e64 v[72:73], v[88:89], -v[72:73]
	v_add_f64_e64 v[78:79], v[78:79], -v[84:85]
	v_add_f64_e32 v[76:77], v[82:83], v[80:81]
	v_add_f64_e64 v[80:81], v[82:83], -v[80:81]
	ds_store_b128 v163, v[146:149]
	ds_store_b128 v163, v[66:69] offset:1440
	ds_store_b128 v163, v[74:77] offset:2880
	;; [unrolled: 1-line block ×5, first 2 shown]
	global_wb scope:SCOPE_SE
	s_wait_storecnt_dscnt 0x0
	s_barrier_signal -1
	s_barrier_wait -1
	global_inv scope:SCOPE_SE
	s_clause 0x1
	global_load_b128 v[11:14], v[9:10], off offset:8592
	global_load_b128 v[220:223], v[9:10], off offset:25888
	ds_load_b128 v[0:3], v8 offset:8640
	s_clause 0x8
	global_load_b128 v[224:227], v[9:10], off offset:25904
	global_load_b128 v[252:255], v[9:10], off offset:25920
	;; [unrolled: 1-line block ×9, first 2 shown]
	ds_load_b128 v[62:65], v8 offset:41472
	ds_load_b128 v[172:175], v8 offset:1728
	s_wait_loadcnt_dscnt 0xa02
	v_mul_f64_e32 v[4:5], v[2:3], v[13:14]
	scratch_store_b128 off, v[11:14], off offset:1640 ; 16-byte Folded Spill
	v_fma_f64 v[132:133], v[0:1], v[11:12], -v[4:5]
	v_mul_f64_e32 v[0:1], v[0:1], v[13:14]
	s_delay_alu instid0(VALU_DEP_1)
	v_fma_f64 v[130:131], v[2:3], v[11:12], v[0:1]
	global_load_b128 v[11:14], v[9:10], off offset:8608
	ds_load_b128 v[0:3], v8 offset:17280
	s_wait_loadcnt_dscnt 0x0
	v_mul_f64_e32 v[4:5], v[2:3], v[13:14]
	scratch_store_b128 off, v[11:14], off offset:1624 ; 16-byte Folded Spill
	v_fma_f64 v[144:145], v[0:1], v[11:12], -v[4:5]
	v_mul_f64_e32 v[0:1], v[0:1], v[13:14]
	s_delay_alu instid0(VALU_DEP_1)
	v_fma_f64 v[146:147], v[2:3], v[11:12], v[0:1]
	global_load_b128 v[11:14], v[9:10], off offset:8624
	;; [unrolled: 9-line block ×10, first 2 shown]
	ds_load_b128 v[0:3], v8 offset:12096
	s_wait_loadcnt_dscnt 0x0
	v_mul_f64_e32 v[4:5], v[2:3], v[13:14]
	scratch_store_b128 off, v[11:14], off offset:1760 ; 16-byte Folded Spill
	v_fma_f64 v[154:155], v[0:1], v[11:12], -v[4:5]
	v_mul_f64_e32 v[0:1], v[0:1], v[13:14]
	s_delay_alu instid0(VALU_DEP_1) | instskip(SKIP_4) | instid1(VALU_DEP_1)
	v_fma_f64 v[152:153], v[2:3], v[11:12], v[0:1]
	global_load_b128 v[11:14], v[9:10], off offset:25936
	ds_load_b128 v[0:3], v8 offset:20736
	s_wait_dscnt 0x0
	v_mul_f64_e32 v[4:5], v[2:3], v[222:223]
	v_fma_f64 v[33:34], v[0:1], v[220:221], -v[4:5]
	v_mul_f64_e32 v[0:1], v[0:1], v[222:223]
	s_delay_alu instid0(VALU_DEP_1) | instskip(SKIP_3) | instid1(VALU_DEP_1)
	v_fma_f64 v[44:45], v[2:3], v[220:221], v[0:1]
	ds_load_b128 v[0:3], v8 offset:29376
	s_wait_dscnt 0x0
	v_mul_f64_e32 v[4:5], v[2:3], v[226:227]
	v_fma_f64 v[42:43], v[0:1], v[224:225], -v[4:5]
	v_mul_f64_e32 v[0:1], v[0:1], v[226:227]
	s_delay_alu instid0(VALU_DEP_1) | instskip(SKIP_3) | instid1(VALU_DEP_1)
	v_fma_f64 v[31:32], v[2:3], v[224:225], v[0:1]
	ds_load_b128 v[0:3], v8 offset:38016
	s_wait_dscnt 0x0
	v_mul_f64_e32 v[4:5], v[2:3], v[254:255]
	v_fma_f64 v[29:30], v[0:1], v[252:253], -v[4:5]
	v_mul_f64_e32 v[0:1], v[0:1], v[254:255]
	s_delay_alu instid0(VALU_DEP_1)
	v_fma_f64 v[52:53], v[2:3], v[252:253], v[0:1]
	ds_load_b128 v[0:3], v8 offset:46656
	s_wait_loadcnt_dscnt 0x0
	v_mul_f64_e32 v[4:5], v[2:3], v[13:14]
	scratch_store_b128 off, v[11:14], off offset:1776 ; 16-byte Folded Spill
	v_fma_f64 v[25:26], v[0:1], v[11:12], -v[4:5]
	v_mul_f64_e32 v[0:1], v[0:1], v[13:14]
	s_delay_alu instid0(VALU_DEP_1) | instskip(SKIP_4) | instid1(VALU_DEP_1)
	v_fma_f64 v[27:28], v[2:3], v[11:12], v[0:1]
	ds_load_b128 v[0:3], v8 offset:13824
	global_load_b128 v[11:14], v[9:10], off offset:43184
	s_wait_dscnt 0x0
	v_mul_f64_e32 v[4:5], v[2:3], v[218:219]
	v_fma_f64 v[138:139], v[0:1], v[216:217], -v[4:5]
	v_mul_f64_e32 v[0:1], v[0:1], v[218:219]
	s_delay_alu instid0(VALU_DEP_1) | instskip(SKIP_3) | instid1(VALU_DEP_1)
	v_fma_f64 v[124:125], v[2:3], v[216:217], v[0:1]
	ds_load_b128 v[0:3], v8 offset:22464
	s_wait_dscnt 0x0
	v_mul_f64_e32 v[4:5], v[2:3], v[182:183]
	v_fma_f64 v[70:71], v[0:1], v[180:181], -v[4:5]
	v_mul_f64_e32 v[0:1], v[0:1], v[182:183]
	s_delay_alu instid0(VALU_DEP_1) | instskip(SKIP_3) | instid1(VALU_DEP_1)
	v_fma_f64 v[68:69], v[2:3], v[180:181], v[0:1]
	ds_load_b128 v[0:3], v8 offset:31104
	;; [unrolled: 7-line block ×5, first 2 shown]
	s_wait_dscnt 0x0
	v_mul_f64_e32 v[4:5], v[2:3], v[178:179]
	v_fma_f64 v[128:129], v[0:1], v[176:177], -v[4:5]
	v_mul_f64_e32 v[0:1], v[0:1], v[178:179]
	ds_load_b128 v[4:7], v8 offset:24192
	v_fma_f64 v[104:105], v[2:3], v[176:177], v[0:1]
	s_wait_dscnt 0x0
	v_mul_f64_e32 v[0:1], v[6:7], v[159:160]
	s_delay_alu instid0(VALU_DEP_1) | instskip(SKIP_1) | instid1(VALU_DEP_1)
	v_fma_f64 v[164:165], v[4:5], v[157:158], -v[0:1]
	v_mul_f64_e32 v[0:1], v[4:5], v[159:160]
	v_fma_f64 v[86:87], v[6:7], v[157:158], v[0:1]
	ds_load_b128 v[4:7], v8 offset:32832
	s_wait_loadcnt_dscnt 0x0
	v_mul_f64_e32 v[0:1], v[6:7], v[13:14]
	s_delay_alu instid0(VALU_DEP_1)
	v_fma_f64 v[90:91], v[4:5], v[11:12], -v[0:1]
	v_mul_f64_e32 v[0:1], v[4:5], v[13:14]
	global_load_b128 v[2:5], v[9:10], off offset:43200
	scratch_store_b128 off, v[11:14], off offset:1796 ; 16-byte Folded Spill
	v_fma_f64 v[118:119], v[6:7], v[11:12], v[0:1]
	v_add_f64_e32 v[6:7], v[130:131], v[94:95]
	s_delay_alu instid0(VALU_DEP_1) | instskip(SKIP_3) | instid1(VALU_DEP_1)
	v_add_f64_e32 v[6:7], v[6:7], v[56:57]
	s_wait_loadcnt 0x0
	scratch_store_b128 off, v[2:5], off offset:1140 ; 16-byte Folded Spill
	v_mul_f64_e32 v[0:1], v[64:65], v[4:5]
	v_fma_f64 v[120:121], v[62:63], v[2:3], -v[0:1]
	v_mul_f64_e32 v[0:1], v[62:63], v[4:5]
	s_delay_alu instid0(VALU_DEP_2) | instskip(NEXT) | instid1(VALU_DEP_2)
	v_add_f64_e32 v[148:149], v[164:165], v[120:121]
	v_fma_f64 v[140:141], v[64:65], v[2:3], v[0:1]
	global_load_b128 v[2:5], v[9:10], off offset:43216
	ds_load_b128 v[62:65], v8 offset:50112
	v_add_f64_e32 v[9:10], v[138:139], v[66:67]
	s_delay_alu instid0(VALU_DEP_1) | instskip(SKIP_1) | instid1(VALU_DEP_1)
	v_add_f64_e32 v[110:111], v[9:10], v[76:77]
	v_add_f64_e32 v[9:10], v[124:125], v[39:40]
	;; [unrolled: 1-line block ×4, first 2 shown]
	s_wait_loadcnt_dscnt 0x0
	v_mul_f64_e32 v[0:1], v[64:65], v[4:5]
	scratch_store_b128 off, v[2:5], off offset:1160 ; 16-byte Folded Spill
	v_fma_f64 v[166:167], v[62:63], v[2:3], -v[0:1]
	v_mul_f64_e32 v[0:1], v[62:63], v[4:5]
	v_add_f64_e32 v[4:5], v[132:133], v[80:81]
	s_delay_alu instid0(VALU_DEP_2)
	v_fma_f64 v[122:123], v[64:65], v[2:3], v[0:1]
	v_add_f64_e32 v[0:1], v[144:145], v[74:75]
	ds_load_b128 v[62:65], v8
	v_add_f64_e32 v[4:5], v[4:5], v[54:55]
	s_wait_dscnt 0x0
	v_add_f64_e32 v[2:3], v[64:65], v[146:147]
	v_add_f64_e32 v[9:10], v[9:10], v[122:123]
	v_fma_f64 v[106:107], v[0:1], -0.5, v[62:63]
	v_add_f64_e32 v[0:1], v[146:147], v[60:61]
	s_delay_alu instid0(VALU_DEP_4) | instskip(SKIP_1) | instid1(VALU_DEP_3)
	v_add_f64_e32 v[2:3], v[2:3], v[60:61]
	v_add_f64_e64 v[60:61], v[146:147], -v[60:61]
	v_fma_f64 v[108:109], v[0:1], -0.5, v[64:65]
	v_add_f64_e32 v[0:1], v[62:63], v[144:145]
	s_delay_alu instid0(VALU_DEP_4)
	v_add_f64_e32 v[116:117], v[2:3], v[6:7]
	v_add_f64_e64 v[102:103], v[2:3], -v[6:7]
	v_add_f64_e32 v[2:3], v[174:175], v[82:83]
	v_add_f64_e32 v[6:7], v[134:135], v[50:51]
	;; [unrolled: 1-line block ×3, first 2 shown]
	v_add_f64_e64 v[74:75], v[144:145], -v[74:75]
	v_fma_f64 v[144:145], v[60:61], s[12:13], v[106:107]
	v_fma_f64 v[60:61], v[60:61], s[14:15], v[106:107]
	v_add_f64_e32 v[2:3], v[2:3], v[58:59]
	v_add_f64_e32 v[6:7], v[6:7], v[37:38]
	;; [unrolled: 1-line block ×3, first 2 shown]
	v_add_f64_e64 v[100:101], v[0:1], -v[4:5]
	v_add_f64_e32 v[0:1], v[92:93], v[48:49]
	v_add_f64_e32 v[4:5], v[136:137], v[46:47]
	v_fma_f64 v[146:147], v[74:75], s[14:15], v[108:109]
	v_fma_f64 v[74:75], v[74:75], s[12:13], v[108:109]
	v_add_f64_e64 v[98:99], v[2:3], -v[6:7]
	v_fma_f64 v[142:143], v[0:1], -0.5, v[172:173]
	v_add_f64_e32 v[0:1], v[82:83], v[58:59]
	v_add_f64_e32 v[4:5], v[4:5], v[126:127]
	s_delay_alu instid0(VALU_DEP_2) | instskip(SKIP_3) | instid1(VALU_DEP_3)
	v_fma_f64 v[88:89], v[0:1], -0.5, v[174:175]
	v_add_f64_e32 v[0:1], v[172:173], v[92:93]
	v_add_f64_e32 v[171:172], v[2:3], v[6:7]
	;; [unrolled: 1-line block ×4, first 2 shown]
	s_delay_alu instid0(VALU_DEP_2) | instskip(NEXT) | instid1(VALU_DEP_2)
	v_add_f64_e32 v[6:7], v[6:7], v[27:28]
	v_add_f64_e32 v[169:170], v[0:1], v[4:5]
	v_add_f64_e64 v[96:97], v[0:1], -v[4:5]
	v_add_f64_e32 v[4:5], v[33:34], v[29:30]
	ds_load_b128 v[0:3], v8 offset:3456
	s_wait_dscnt 0x0
	v_fma_f64 v[173:174], v[4:5], -0.5, v[0:1]
	v_add_f64_e32 v[4:5], v[44:45], v[52:53]
	v_add_f64_e32 v[0:1], v[0:1], v[33:34]
	v_add_f64_e64 v[33:34], v[33:34], -v[29:30]
	s_delay_alu instid0(VALU_DEP_3) | instskip(SKIP_3) | instid1(VALU_DEP_3)
	v_fma_f64 v[84:85], v[4:5], -0.5, v[2:3]
	v_add_f64_e32 v[2:3], v[2:3], v[44:45]
	v_add_f64_e32 v[4:5], v[154:155], v[42:43]
	;; [unrolled: 1-line block ×4, first 2 shown]
	s_delay_alu instid0(VALU_DEP_3) | instskip(NEXT) | instid1(VALU_DEP_2)
	v_add_f64_e32 v[4:5], v[4:5], v[25:26]
	v_add_f64_e32 v[64:65], v[2:3], v[6:7]
	s_delay_alu instid0(VALU_DEP_2)
	v_add_f64_e32 v[62:63], v[0:1], v[4:5]
	v_add_f64_e64 v[21:22], v[0:1], -v[4:5]
	v_add_f64_e64 v[23:24], v[2:3], -v[6:7]
	v_add_f64_e32 v[4:5], v[70:71], v[72:73]
	v_add_f64_e32 v[6:7], v[68:69], v[78:79]
	ds_load_b128 v[0:3], v8 offset:5184
	s_wait_dscnt 0x0
	v_fma_f64 v[11:12], v[4:5], -0.5, v[0:1]
	v_fma_f64 v[6:7], v[6:7], -0.5, v[2:3]
	v_add_f64_e32 v[0:1], v[0:1], v[70:71]
	v_add_f64_e32 v[2:3], v[2:3], v[68:69]
	v_add_f64_e64 v[70:71], v[70:71], -v[72:73]
	v_add_f64_e64 v[68:69], v[68:69], -v[78:79]
	s_delay_alu instid0(VALU_DEP_4) | instskip(NEXT) | instid1(VALU_DEP_4)
	v_add_f64_e32 v[0:1], v[0:1], v[72:73]
	v_add_f64_e32 v[2:3], v[2:3], v[78:79]
	v_add_f64_e64 v[72:73], v[39:40], -v[35:36]
	v_add_f64_e64 v[78:79], v[164:165], -v[120:121]
	s_delay_alu instid0(VALU_DEP_4) | instskip(NEXT) | instid1(VALU_DEP_4)
	v_add_f64_e32 v[17:18], v[0:1], v[110:111]
	v_add_f64_e32 v[19:20], v[2:3], v[112:113]
	v_add_f64_e64 v[13:14], v[0:1], -v[110:111]
	v_add_f64_e64 v[15:16], v[2:3], -v[112:113]
	ds_load_b128 v[110:113], v8 offset:6912
	v_add_f64_e32 v[2:3], v[86:87], v[140:141]
	s_wait_dscnt 0x0
	v_fma_f64 v[4:5], v[148:149], -0.5, v[110:111]
	v_add_f64_e32 v[110:111], v[110:111], v[164:165]
	s_delay_alu instid0(VALU_DEP_3) | instskip(SKIP_1) | instid1(VALU_DEP_3)
	v_fma_f64 v[2:3], v[2:3], -0.5, v[112:113]
	v_add_f64_e32 v[112:113], v[112:113], v[86:87]
	v_add_f64_e32 v[148:149], v[110:111], v[120:121]
	;; [unrolled: 1-line block ×3, first 2 shown]
	s_delay_alu instid0(VALU_DEP_3) | instskip(NEXT) | instid1(VALU_DEP_2)
	v_add_f64_e32 v[150:151], v[112:113], v[140:141]
	v_add_f64_e32 v[0:1], v[110:111], v[166:167]
	s_delay_alu instid0(VALU_DEP_2) | instskip(SKIP_2) | instid1(VALU_DEP_4)
	v_add_f64_e32 v[112:113], v[150:151], v[9:10]
	v_add_f64_e64 v[150:151], v[150:151], -v[9:10]
	v_add_f64_e64 v[9:10], v[80:81], -v[54:55]
	v_add_f64_e32 v[110:111], v[148:149], v[0:1]
	v_add_f64_e64 v[148:149], v[148:149], -v[0:1]
	v_add_f64_e32 v[0:1], v[80:81], v[54:55]
	v_add_f64_e32 v[54:55], v[94:95], v[56:57]
	v_add_f64_e64 v[94:95], v[94:95], -v[56:57]
	s_delay_alu instid0(VALU_DEP_3) | instskip(NEXT) | instid1(VALU_DEP_3)
	v_fma_f64 v[0:1], v[0:1], -0.5, v[132:133]
	v_fma_f64 v[80:81], v[54:55], -0.5, v[130:131]
	s_delay_alu instid0(VALU_DEP_2) | instskip(NEXT) | instid1(VALU_DEP_2)
	v_fma_f64 v[56:57], v[94:95], s[12:13], v[0:1]
	v_fma_f64 v[54:55], v[9:10], s[14:15], v[80:81]
	;; [unrolled: 1-line block ×4, first 2 shown]
	s_delay_alu instid0(VALU_DEP_3) | instskip(NEXT) | instid1(VALU_DEP_3)
	v_mul_f64_e32 v[130:131], s[12:13], v[54:55]
	v_mul_f64_e32 v[80:81], -0.5, v[0:1]
	s_delay_alu instid0(VALU_DEP_2) | instskip(SKIP_1) | instid1(VALU_DEP_3)
	v_fma_f64 v[130:131], v[56:57], 0.5, v[130:131]
	v_mul_f64_e32 v[56:57], s[14:15], v[56:57]
	v_fma_f64 v[80:81], v[9:10], s[12:13], v[80:81]
	v_mul_f64_e32 v[9:10], -0.5, v[9:10]
	s_delay_alu instid0(VALU_DEP_3) | instskip(SKIP_1) | instid1(VALU_DEP_3)
	v_fma_f64 v[132:133], v[54:55], 0.5, v[56:57]
	v_add_f64_e32 v[54:55], v[144:145], v[130:131]
	v_fma_f64 v[0:1], v[0:1], s[14:15], v[9:10]
	v_add_f64_e64 v[9:10], v[46:47], -v[126:127]
	v_add_f64_e64 v[130:131], v[144:145], -v[130:131]
	v_add_f64_e32 v[106:107], v[60:61], v[80:81]
	v_add_f64_e64 v[144:145], v[60:61], -v[80:81]
	v_add_f64_e64 v[80:81], v[82:83], -v[58:59]
	;; [unrolled: 1-line block ×3, first 2 shown]
	v_add_f64_e32 v[56:57], v[146:147], v[132:133]
	v_add_f64_e64 v[132:133], v[146:147], -v[132:133]
	v_add_f64_e32 v[108:109], v[74:75], v[0:1]
	v_add_f64_e64 v[146:147], v[74:75], -v[0:1]
	v_add_f64_e32 v[0:1], v[46:47], v[126:127]
	v_add_f64_e32 v[46:47], v[50:51], v[37:38]
	v_add_f64_e64 v[37:38], v[50:51], -v[37:38]
	v_fma_f64 v[58:59], v[80:81], s[12:13], v[142:143]
	v_fma_f64 v[92:93], v[82:83], s[14:15], v[88:89]
	v_fma_f64 v[0:1], v[0:1], -0.5, v[136:137]
	v_fma_f64 v[74:75], v[46:47], -0.5, v[134:135]
	s_delay_alu instid0(VALU_DEP_2) | instskip(NEXT) | instid1(VALU_DEP_2)
	v_fma_f64 v[48:49], v[37:38], s[12:13], v[0:1]
	v_fma_f64 v[46:47], v[9:10], s[14:15], v[74:75]
	;; [unrolled: 1-line block ×5, first 2 shown]
	s_delay_alu instid0(VALU_DEP_4) | instskip(NEXT) | instid1(VALU_DEP_4)
	v_mul_f64_e32 v[50:51], s[12:13], v[46:47]
	v_mul_f64_e32 v[74:75], -0.5, v[0:1]
	s_delay_alu instid0(VALU_DEP_2) | instskip(SKIP_1) | instid1(VALU_DEP_3)
	v_fma_f64 v[50:51], v[48:49], 0.5, v[50:51]
	v_mul_f64_e32 v[48:49], s[14:15], v[48:49]
	v_fma_f64 v[74:75], v[9:10], s[12:13], v[74:75]
	v_mul_f64_e32 v[9:10], -0.5, v[9:10]
	s_delay_alu instid0(VALU_DEP_3)
	v_fma_f64 v[60:61], v[46:47], 0.5, v[48:49]
	v_add_f64_e32 v[46:47], v[58:59], v[50:51]
	v_add_f64_e64 v[58:59], v[58:59], -v[50:51]
	v_fma_f64 v[50:51], v[82:83], s[12:13], v[88:89]
	v_fma_f64 v[0:1], v[0:1], s[14:15], v[9:10]
	v_add_f64_e64 v[9:10], v[42:43], -v[25:26]
	v_add_f64_e32 v[80:81], v[37:38], v[74:75]
	v_add_f64_e64 v[134:135], v[37:38], -v[74:75]
	v_fma_f64 v[74:75], v[68:69], s[12:13], v[11:12]
	v_fma_f64 v[11:12], v[68:69], s[14:15], v[11:12]
	v_add_f64_e64 v[88:89], v[118:119], -v[122:123]
	v_add_f64_e32 v[48:49], v[92:93], v[60:61]
	v_add_f64_e64 v[60:61], v[92:93], -v[60:61]
	v_fma_f64 v[92:93], v[78:79], s[14:15], v[2:3]
	v_fma_f64 v[2:3], v[78:79], s[12:13], v[2:3]
	v_add_f64_e32 v[82:83], v[50:51], v[0:1]
	v_add_f64_e64 v[136:137], v[50:51], -v[0:1]
	v_add_f64_e32 v[0:1], v[42:43], v[25:26]
	v_add_f64_e32 v[25:26], v[31:32], v[27:28]
	v_add_f64_e64 v[41:42], v[44:45], -v[52:53]
	v_add_f64_e64 v[43:44], v[31:32], -v[27:28]
	v_fma_f64 v[52:53], v[33:34], s[14:15], v[84:85]
	v_fma_f64 v[33:34], v[33:34], s[12:13], v[84:85]
	v_fma_f64 v[0:1], v[0:1], -0.5, v[154:155]
	v_fma_f64 v[37:38], v[25:26], -0.5, v[152:153]
	v_fma_f64 v[50:51], v[41:42], s[12:13], v[173:174]
	s_delay_alu instid0(VALU_DEP_3) | instskip(NEXT) | instid1(VALU_DEP_3)
	v_fma_f64 v[27:28], v[43:44], s[12:13], v[0:1]
	v_fma_f64 v[25:26], v[9:10], s[14:15], v[37:38]
	v_fma_f64 v[0:1], v[43:44], s[14:15], v[0:1]
	v_fma_f64 v[9:10], v[9:10], s[12:13], v[37:38]
	s_delay_alu instid0(VALU_DEP_3) | instskip(NEXT) | instid1(VALU_DEP_3)
	v_mul_f64_e32 v[29:30], s[12:13], v[25:26]
	v_mul_f64_e32 v[37:38], -0.5, v[0:1]
	s_delay_alu instid0(VALU_DEP_2) | instskip(SKIP_1) | instid1(VALU_DEP_3)
	v_fma_f64 v[29:30], v[27:28], 0.5, v[29:30]
	v_mul_f64_e32 v[27:28], s[14:15], v[27:28]
	v_fma_f64 v[37:38], v[9:10], s[12:13], v[37:38]
	v_mul_f64_e32 v[9:10], -0.5, v[9:10]
	s_delay_alu instid0(VALU_DEP_3) | instskip(SKIP_1) | instid1(VALU_DEP_3)
	v_fma_f64 v[31:32], v[25:26], 0.5, v[27:28]
	v_add_f64_e32 v[25:26], v[50:51], v[29:30]
	v_fma_f64 v[0:1], v[0:1], s[14:15], v[9:10]
	v_add_f64_e64 v[9:10], v[66:67], -v[76:77]
	v_add_f64_e64 v[29:30], v[50:51], -v[29:30]
	v_fma_f64 v[50:51], v[41:42], s[14:15], v[173:174]
	v_add_f64_e32 v[27:28], v[52:53], v[31:32]
	v_add_f64_e64 v[31:32], v[52:53], -v[31:32]
	v_add_f64_e32 v[43:44], v[33:34], v[0:1]
	v_add_f64_e64 v[52:53], v[33:34], -v[0:1]
	v_add_f64_e32 v[0:1], v[66:67], v[76:77]
	v_add_f64_e32 v[33:34], v[39:40], v[35:36]
	v_fma_f64 v[76:77], v[70:71], s[14:15], v[6:7]
	v_fma_f64 v[6:7], v[70:71], s[12:13], v[6:7]
	v_add_f64_e32 v[41:42], v[50:51], v[37:38]
	v_add_f64_e64 v[50:51], v[50:51], -v[37:38]
	v_fma_f64 v[0:1], v[0:1], -0.5, v[138:139]
	v_fma_f64 v[66:67], v[33:34], -0.5, v[124:125]
	s_delay_alu instid0(VALU_DEP_2) | instskip(SKIP_1) | instid1(VALU_DEP_3)
	v_fma_f64 v[35:36], v[72:73], s[12:13], v[0:1]
	v_fma_f64 v[0:1], v[72:73], s[14:15], v[0:1]
	v_fma_f64 v[33:34], v[9:10], s[14:15], v[66:67]
	v_fma_f64 v[9:10], v[9:10], s[12:13], v[66:67]
	s_delay_alu instid0(VALU_DEP_3) | instskip(NEXT) | instid1(VALU_DEP_3)
	v_mul_f64_e32 v[66:67], -0.5, v[0:1]
	v_mul_f64_e32 v[37:38], s[12:13], v[33:34]
	s_delay_alu instid0(VALU_DEP_2) | instskip(SKIP_1) | instid1(VALU_DEP_3)
	v_fma_f64 v[70:71], v[9:10], s[12:13], v[66:67]
	v_mul_f64_e32 v[9:10], -0.5, v[9:10]
	v_fma_f64 v[37:38], v[35:36], 0.5, v[37:38]
	v_mul_f64_e32 v[35:36], s[14:15], v[35:36]
	s_delay_alu instid0(VALU_DEP_4) | instskip(NEXT) | instid1(VALU_DEP_4)
	v_add_f64_e32 v[66:67], v[11:12], v[70:71]
	v_fma_f64 v[0:1], v[0:1], s[14:15], v[9:10]
	v_add_f64_e32 v[9:10], v[118:119], v[122:123]
	s_delay_alu instid0(VALU_DEP_4)
	v_fma_f64 v[39:40], v[33:34], 0.5, v[35:36]
	v_add_f64_e32 v[33:34], v[74:75], v[37:38]
	v_add_f64_e64 v[37:38], v[74:75], -v[37:38]
	v_add_f64_e64 v[70:71], v[11:12], -v[70:71]
	;; [unrolled: 1-line block ×3, first 2 shown]
	v_add_f64_e32 v[68:69], v[6:7], v[0:1]
	v_add_f64_e64 v[72:73], v[6:7], -v[0:1]
	v_add_f64_e32 v[0:1], v[90:91], v[166:167]
	v_add_f64_e64 v[6:7], v[90:91], -v[166:167]
	v_fma_f64 v[9:10], v[9:10], -0.5, v[104:105]
	v_add_f64_e32 v[35:36], v[76:77], v[39:40]
	v_add_f64_e64 v[39:40], v[76:77], -v[39:40]
	v_fma_f64 v[90:91], v[11:12], s[12:13], v[4:5]
	v_fma_f64 v[4:5], v[11:12], s[14:15], v[4:5]
	v_fma_f64 v[0:1], v[0:1], -0.5, v[128:129]
	v_fma_f64 v[74:75], v[6:7], s[14:15], v[9:10]
	v_fma_f64 v[6:7], v[6:7], s[12:13], v[9:10]
	s_delay_alu instid0(VALU_DEP_3) | instskip(SKIP_1) | instid1(VALU_DEP_4)
	v_fma_f64 v[76:77], v[88:89], s[12:13], v[0:1]
	v_fma_f64 v[0:1], v[88:89], s[14:15], v[0:1]
	v_mul_f64_e32 v[84:85], s[12:13], v[74:75]
	s_delay_alu instid0(VALU_DEP_2) | instskip(NEXT) | instid1(VALU_DEP_2)
	v_mul_f64_e32 v[9:10], -0.5, v[0:1]
	v_fma_f64 v[84:85], v[76:77], 0.5, v[84:85]
	v_mul_f64_e32 v[76:77], s[14:15], v[76:77]
	s_delay_alu instid0(VALU_DEP_3) | instskip(SKIP_1) | instid1(VALU_DEP_3)
	v_fma_f64 v[9:10], v[6:7], s[12:13], v[9:10]
	v_mul_f64_e32 v[6:7], -0.5, v[6:7]
	v_fma_f64 v[86:87], v[74:75], 0.5, v[76:77]
	v_add_f64_e32 v[74:75], v[90:91], v[84:85]
	v_add_f64_e64 v[84:85], v[90:91], -v[84:85]
	v_add_f64_e32 v[88:89], v[4:5], v[9:10]
	v_fma_f64 v[0:1], v[0:1], s[14:15], v[6:7]
	v_add_f64_e32 v[76:77], v[92:93], v[86:87]
	v_add_f64_e64 v[86:87], v[92:93], -v[86:87]
	v_add_f64_e64 v[92:93], v[4:5], -v[9:10]
	s_delay_alu instid0(VALU_DEP_4)
	v_add_f64_e32 v[90:91], v[2:3], v[0:1]
	v_add_f64_e64 v[94:95], v[2:3], -v[0:1]
	ds_store_b128 v8, v[114:117]
	ds_store_b128 v8, v[100:103] offset:25920
	ds_store_b128 v8, v[169:172] offset:1728
	;; [unrolled: 1-line block ×29, first 2 shown]
	global_wb scope:SCOPE_SE
	s_wait_storecnt_dscnt 0x0
	s_barrier_signal -1
	s_barrier_wait -1
	global_inv scope:SCOPE_SE
	global_load_b128 v[4:7], v8, s[8:9] offset:51840
	ds_load_b128 v[0:3], v8
	s_add_nc_u64 s[8:9], s[8:9], 0xca80
	s_wait_loadcnt_dscnt 0x0
	v_mul_f64_e32 v[9:10], v[2:3], v[6:7]
	v_mul_f64_e32 v[6:7], v[0:1], v[6:7]
	s_delay_alu instid0(VALU_DEP_2) | instskip(NEXT) | instid1(VALU_DEP_2)
	v_fma_f64 v[0:1], v[0:1], v[4:5], -v[9:10]
	v_fma_f64 v[2:3], v[2:3], v[4:5], v[6:7]
	global_load_b128 v[4:7], v8, s[8:9] offset:17280
	ds_load_b128 v[9:12], v8 offset:17280
	s_wait_loadcnt_dscnt 0x0
	v_mul_f64_e32 v[13:14], v[11:12], v[6:7]
	v_mul_f64_e32 v[6:7], v[9:10], v[6:7]
	s_delay_alu instid0(VALU_DEP_2) | instskip(NEXT) | instid1(VALU_DEP_2)
	v_fma_f64 v[9:10], v[9:10], v[4:5], -v[13:14]
	v_fma_f64 v[11:12], v[11:12], v[4:5], v[6:7]
	global_load_b128 v[4:7], v8, s[8:9] offset:34560
	ds_load_b128 v[13:16], v8 offset:34560
	;; [unrolled: 8-line block ×29, first 2 shown]
	s_wait_loadcnt_dscnt 0x0
	v_mul_f64_e32 v[125:126], v[123:124], v[6:7]
	v_mul_f64_e32 v[6:7], v[121:122], v[6:7]
	s_delay_alu instid0(VALU_DEP_2) | instskip(NEXT) | instid1(VALU_DEP_2)
	v_fma_f64 v[121:122], v[121:122], v[4:5], -v[125:126]
	v_fma_f64 v[123:124], v[123:124], v[4:5], v[6:7]
	ds_store_b128 v8, v[0:3]
	ds_store_b128 v8, v[9:12] offset:17280
	ds_store_b128 v8, v[13:16] offset:34560
	ds_store_b128 v8, v[17:20] offset:1728
	ds_store_b128 v8, v[21:24] offset:19008
	ds_store_b128 v8, v[25:28] offset:36288
	ds_store_b128 v8, v[29:32] offset:3456
	ds_store_b128 v8, v[33:36] offset:20736
	ds_store_b128 v8, v[37:40] offset:38016
	ds_store_b128 v8, v[41:44] offset:5184
	ds_store_b128 v8, v[45:48] offset:22464
	ds_store_b128 v8, v[49:52] offset:39744
	ds_store_b128 v8, v[53:56] offset:6912
	ds_store_b128 v8, v[57:60] offset:24192
	ds_store_b128 v8, v[61:64] offset:41472
	ds_store_b128 v8, v[65:68] offset:8640
	ds_store_b128 v8, v[69:72] offset:25920
	ds_store_b128 v8, v[73:76] offset:43200
	ds_store_b128 v8, v[77:80] offset:10368
	ds_store_b128 v8, v[81:84] offset:27648
	ds_store_b128 v8, v[85:88] offset:44928
	ds_store_b128 v8, v[89:92] offset:12096
	ds_store_b128 v8, v[93:96] offset:29376
	ds_store_b128 v8, v[97:100] offset:46656
	ds_store_b128 v8, v[101:104] offset:13824
	ds_store_b128 v8, v[105:108] offset:31104
	ds_store_b128 v8, v[109:112] offset:48384
	ds_store_b128 v8, v[113:116] offset:15552
	ds_store_b128 v8, v[117:120] offset:32832
	ds_store_b128 v8, v[121:124] offset:50112
	global_wb scope:SCOPE_SE
	s_wait_dscnt 0x0
	s_barrier_signal -1
	s_barrier_wait -1
	global_inv scope:SCOPE_SE
	ds_load_b128 v[0:3], v8
	ds_load_b128 v[4:7], v8 offset:17280
	ds_load_b128 v[9:12], v8 offset:34560
	s_wait_dscnt 0x1
	v_add_f64_e32 v[13:14], v[0:1], v[4:5]
	v_add_f64_e32 v[15:16], v[2:3], v[6:7]
	s_wait_dscnt 0x0
	v_add_f64_e32 v[155:156], v[4:5], v[9:10]
	v_add_f64_e64 v[161:162], v[6:7], -v[11:12]
	v_add_f64_e32 v[89:90], v[6:7], v[11:12]
	v_add_f64_e64 v[91:92], v[4:5], -v[9:10]
	v_add_f64_e32 v[4:5], v[13:14], v[9:10]
	v_add_f64_e32 v[6:7], v[15:16], v[11:12]
	ds_load_b128 v[9:12], v8 offset:19008
	ds_load_b128 v[13:16], v8 offset:1728
	;; [unrolled: 1-line block ×3, first 2 shown]
	s_wait_dscnt 0x1
	v_add_f64_e32 v[21:22], v[13:14], v[9:10]
	v_add_f64_e32 v[23:24], v[15:16], v[11:12]
	s_wait_dscnt 0x0
	v_add_f64_e32 v[93:94], v[9:10], v[17:18]
	v_add_f64_e64 v[95:96], v[11:12], -v[19:20]
	v_add_f64_e32 v[97:98], v[11:12], v[19:20]
	v_add_f64_e64 v[99:100], v[9:10], -v[17:18]
	v_fma_f64 v[11:12], v[155:156], -0.5, v[0:1]
	v_add_f64_e32 v[85:86], v[21:22], v[17:18]
	v_add_f64_e32 v[87:88], v[23:24], v[19:20]
	ds_load_b128 v[17:20], v8 offset:3456
	ds_load_b128 v[21:24], v8 offset:20736
	;; [unrolled: 1-line block ×3, first 2 shown]
	v_fma_f64 v[0:1], v[161:162], s[14:15], v[11:12]
	s_wait_dscnt 0x1
	v_add_f64_e32 v[29:30], v[17:18], v[21:22]
	v_add_f64_e32 v[31:32], v[19:20], v[23:24]
	s_wait_dscnt 0x0
	v_add_f64_e32 v[101:102], v[21:22], v[25:26]
	v_add_f64_e64 v[103:104], v[23:24], -v[27:28]
	v_add_f64_e32 v[105:106], v[23:24], v[27:28]
	v_add_f64_e64 v[107:108], v[21:22], -v[25:26]
	v_add_f64_e32 v[21:22], v[29:30], v[25:26]
	v_add_f64_e32 v[23:24], v[31:32], v[27:28]
	ds_load_b128 v[25:28], v8 offset:22464
	ds_load_b128 v[29:32], v8 offset:5184
	ds_load_b128 v[33:36], v8 offset:39744
	s_wait_dscnt 0x1
	v_add_f64_e32 v[37:38], v[29:30], v[25:26]
	v_add_f64_e32 v[39:40], v[31:32], v[27:28]
	s_wait_dscnt 0x0
	v_add_f64_e32 v[109:110], v[25:26], v[33:34]
	v_add_f64_e64 v[111:112], v[27:28], -v[35:36]
	v_add_f64_e32 v[113:114], v[27:28], v[35:36]
	v_add_f64_e64 v[115:116], v[25:26], -v[33:34]
	v_add_f64_e32 v[25:26], v[37:38], v[33:34]
	v_add_f64_e32 v[27:28], v[39:40], v[35:36]
	ds_load_b128 v[33:36], v8 offset:6912
	ds_load_b128 v[37:40], v8 offset:24192
	ds_load_b128 v[41:44], v8 offset:41472
	;; [unrolled: 13-line block ×7, first 2 shown]
	global_wb scope:SCOPE_SE
	s_wait_dscnt 0x0
	s_barrier_signal -1
	s_barrier_wait -1
	global_inv scope:SCOPE_SE
	v_add_f64_e32 v[166:167], v[73:74], v[77:78]
	v_add_f64_e32 v[170:171], v[77:78], v[81:82]
	v_add_f64_e64 v[9:10], v[77:78], -v[81:82]
	v_add_f64_e32 v[168:169], v[75:76], v[79:80]
	v_add_f64_e64 v[172:173], v[79:80], -v[83:84]
	v_add_f64_e32 v[174:175], v[79:80], v[83:84]
	v_add_f64_e32 v[77:78], v[166:167], v[81:82]
	v_fma_f64 v[81:82], v[161:162], s[12:13], v[11:12]
	scratch_load_b32 v11, off, off offset:828 th:TH_LOAD_LU ; 4-byte Folded Reload
	v_add_f64_e32 v[79:80], v[168:169], v[83:84]
	v_fma_f64 v[83:84], v[89:90], -0.5, v[2:3]
	s_delay_alu instid0(VALU_DEP_1)
	v_fma_f64 v[2:3], v[91:92], s[12:13], v[83:84]
	v_fma_f64 v[83:84], v[91:92], s[14:15], v[83:84]
	s_wait_loadcnt 0x0
	ds_store_b128 v11, v[4:7]
	ds_store_b128 v11, v[0:3] offset:16
	ds_store_b128 v11, v[81:84] offset:32
	scratch_load_b32 v11, off, off offset:940 th:TH_LOAD_LU ; 4-byte Folded Reload
	v_fma_f64 v[2:3], v[93:94], -0.5, v[13:14]
	v_fma_f64 v[6:7], v[97:98], -0.5, v[15:16]
	s_delay_alu instid0(VALU_DEP_2) | instskip(SKIP_1) | instid1(VALU_DEP_3)
	v_fma_f64 v[0:1], v[95:96], s[14:15], v[2:3]
	v_fma_f64 v[4:5], v[95:96], s[12:13], v[2:3]
	v_fma_f64 v[2:3], v[99:100], s[12:13], v[6:7]
	v_fma_f64 v[6:7], v[99:100], s[14:15], v[6:7]
	s_wait_loadcnt 0x0
	ds_store_b128 v11, v[85:88]
	ds_store_b128 v11, v[0:3] offset:16
	ds_store_b128 v11, v[4:7] offset:32
	scratch_load_b32 v11, off, off offset:928 th:TH_LOAD_LU ; 4-byte Folded Reload
	v_fma_f64 v[2:3], v[101:102], -0.5, v[17:18]
	v_fma_f64 v[6:7], v[105:106], -0.5, v[19:20]
	s_delay_alu instid0(VALU_DEP_2) | instskip(SKIP_1) | instid1(VALU_DEP_3)
	v_fma_f64 v[0:1], v[103:104], s[14:15], v[2:3]
	v_fma_f64 v[4:5], v[103:104], s[12:13], v[2:3]
	v_fma_f64 v[2:3], v[107:108], s[12:13], v[6:7]
	v_fma_f64 v[6:7], v[107:108], s[14:15], v[6:7]
	s_wait_loadcnt 0x0
	ds_store_b128 v11, v[21:24]
	ds_store_b128 v11, v[0:3] offset:16
	ds_store_b128 v11, v[4:7] offset:32
	scratch_load_b32 v11, off, off offset:904 th:TH_LOAD_LU ; 4-byte Folded Reload
	v_fma_f64 v[2:3], v[109:110], -0.5, v[29:30]
	v_fma_f64 v[6:7], v[113:114], -0.5, v[31:32]
	s_delay_alu instid0(VALU_DEP_2) | instskip(SKIP_1) | instid1(VALU_DEP_3)
	v_fma_f64 v[0:1], v[111:112], s[14:15], v[2:3]
	v_fma_f64 v[4:5], v[111:112], s[12:13], v[2:3]
	v_fma_f64 v[2:3], v[115:116], s[12:13], v[6:7]
	v_fma_f64 v[6:7], v[115:116], s[14:15], v[6:7]
	s_wait_loadcnt 0x0
	ds_store_b128 v11, v[25:28]
	ds_store_b128 v11, v[0:3] offset:16
	ds_store_b128 v11, v[4:7] offset:32
	scratch_load_b32 v11, off, off offset:848 th:TH_LOAD_LU ; 4-byte Folded Reload
	v_fma_f64 v[2:3], v[117:118], -0.5, v[33:34]
	v_fma_f64 v[6:7], v[121:122], -0.5, v[35:36]
	s_delay_alu instid0(VALU_DEP_2) | instskip(SKIP_1) | instid1(VALU_DEP_3)
	v_fma_f64 v[0:1], v[119:120], s[14:15], v[2:3]
	v_fma_f64 v[4:5], v[119:120], s[12:13], v[2:3]
	v_fma_f64 v[2:3], v[123:124], s[12:13], v[6:7]
	v_fma_f64 v[6:7], v[123:124], s[14:15], v[6:7]
	s_wait_loadcnt 0x0
	ds_store_b128 v11, v[37:40]
	ds_store_b128 v11, v[0:3] offset:16
	ds_store_b128 v11, v[4:7] offset:32
	scratch_load_b32 v11, off, off offset:836 th:TH_LOAD_LU ; 4-byte Folded Reload
	v_fma_f64 v[2:3], v[125:126], -0.5, v[45:46]
	v_fma_f64 v[6:7], v[129:130], -0.5, v[47:48]
	s_delay_alu instid0(VALU_DEP_2) | instskip(SKIP_1) | instid1(VALU_DEP_3)
	v_fma_f64 v[0:1], v[127:128], s[14:15], v[2:3]
	v_fma_f64 v[4:5], v[127:128], s[12:13], v[2:3]
	v_fma_f64 v[2:3], v[131:132], s[12:13], v[6:7]
	v_fma_f64 v[6:7], v[131:132], s[14:15], v[6:7]
	s_wait_loadcnt 0x0
	ds_store_b128 v11, v[41:44]
	ds_store_b128 v11, v[0:3] offset:16
	ds_store_b128 v11, v[4:7] offset:32
	scratch_load_b32 v11, off, off offset:792 th:TH_LOAD_LU ; 4-byte Folded Reload
	v_fma_f64 v[2:3], v[133:134], -0.5, v[49:50]
	v_fma_f64 v[6:7], v[137:138], -0.5, v[51:52]
	s_delay_alu instid0(VALU_DEP_2) | instskip(SKIP_1) | instid1(VALU_DEP_3)
	v_fma_f64 v[0:1], v[135:136], s[14:15], v[2:3]
	v_fma_f64 v[4:5], v[135:136], s[12:13], v[2:3]
	v_fma_f64 v[2:3], v[139:140], s[12:13], v[6:7]
	v_fma_f64 v[6:7], v[139:140], s[14:15], v[6:7]
	s_wait_loadcnt 0x0
	ds_store_b128 v11, v[53:56]
	ds_store_b128 v11, v[0:3] offset:16
	ds_store_b128 v11, v[4:7] offset:32
	scratch_load_b32 v11, off, off offset:788 th:TH_LOAD_LU ; 4-byte Folded Reload
	v_fma_f64 v[2:3], v[141:142], -0.5, v[61:62]
	v_fma_f64 v[6:7], v[145:146], -0.5, v[63:64]
	s_delay_alu instid0(VALU_DEP_2) | instskip(SKIP_1) | instid1(VALU_DEP_3)
	v_fma_f64 v[0:1], v[143:144], s[14:15], v[2:3]
	v_fma_f64 v[4:5], v[143:144], s[12:13], v[2:3]
	v_fma_f64 v[2:3], v[147:148], s[12:13], v[6:7]
	v_fma_f64 v[6:7], v[147:148], s[14:15], v[6:7]
	s_wait_loadcnt 0x0
	ds_store_b128 v11, v[57:60]
	ds_store_b128 v11, v[0:3] offset:16
	ds_store_b128 v11, v[4:7] offset:32
	scratch_load_b32 v11, off, off offset:752 th:TH_LOAD_LU ; 4-byte Folded Reload
	v_fma_f64 v[2:3], v[149:150], -0.5, v[65:66]
	v_fma_f64 v[6:7], v[153:154], -0.5, v[67:68]
	s_delay_alu instid0(VALU_DEP_2) | instskip(SKIP_1) | instid1(VALU_DEP_3)
	v_fma_f64 v[0:1], v[151:152], s[14:15], v[2:3]
	v_fma_f64 v[4:5], v[151:152], s[12:13], v[2:3]
	v_fma_f64 v[2:3], v[164:165], s[12:13], v[6:7]
	v_fma_f64 v[6:7], v[164:165], s[14:15], v[6:7]
	s_wait_loadcnt 0x0
	ds_store_b128 v11, v[69:72]
	ds_store_b128 v11, v[0:3] offset:16
	ds_store_b128 v11, v[4:7] offset:32
	v_fma_f64 v[2:3], v[170:171], -0.5, v[73:74]
	v_fma_f64 v[6:7], v[174:175], -0.5, v[75:76]
	s_delay_alu instid0(VALU_DEP_2) | instskip(SKIP_1) | instid1(VALU_DEP_3)
	v_fma_f64 v[0:1], v[172:173], s[14:15], v[2:3]
	v_fma_f64 v[4:5], v[172:173], s[12:13], v[2:3]
	;; [unrolled: 1-line block ×4, first 2 shown]
	scratch_load_b32 v9, off, off offset:748 th:TH_LOAD_LU ; 4-byte Folded Reload
	s_wait_loadcnt 0x0
	ds_store_b128 v9, v[77:80]
	ds_store_b128 v9, v[0:3] offset:16
	ds_store_b128 v9, v[4:7] offset:32
	global_wb scope:SCOPE_SE
	s_wait_dscnt 0x0
	s_barrier_signal -1
	s_barrier_wait -1
	global_inv scope:SCOPE_SE
	s_clause 0x1
	scratch_load_b128 v[9:12], off, off offset:492 th:TH_LOAD_LU
	scratch_load_b128 v[18:21], off, off offset:772 th:TH_LOAD_LU
	ds_load_b128 v[0:3], v8 offset:17280
	scratch_load_b128 v[30:33], off, off offset:812 th:TH_LOAD_LU ; 16-byte Folded Reload
	s_wait_loadcnt_dscnt 0x200
	v_mul_f64_e32 v[4:5], v[11:12], v[2:3]
	s_delay_alu instid0(VALU_DEP_1) | instskip(SKIP_1) | instid1(VALU_DEP_1)
	v_fma_f64 v[22:23], v[9:10], v[0:1], v[4:5]
	v_mul_f64_e32 v[0:1], v[11:12], v[0:1]
	v_fma_f64 v[24:25], v[9:10], v[2:3], -v[0:1]
	scratch_load_b128 v[9:12], off, off offset:508 th:TH_LOAD_LU ; 16-byte Folded Reload
	ds_load_b128 v[0:3], v8 offset:34560
	s_wait_loadcnt_dscnt 0x0
	v_mul_f64_e32 v[4:5], v[11:12], v[2:3]
	s_delay_alu instid0(VALU_DEP_1) | instskip(SKIP_1) | instid1(VALU_DEP_1)
	v_fma_f64 v[26:27], v[9:10], v[0:1], v[4:5]
	v_mul_f64_e32 v[0:1], v[11:12], v[0:1]
	v_fma_f64 v[28:29], v[9:10], v[2:3], -v[0:1]
	scratch_load_b128 v[9:12], off, off offset:524 th:TH_LOAD_LU ; 16-byte Folded Reload
	ds_load_b128 v[0:3], v8 offset:19008
	;; [unrolled: 8-line block ×16, first 2 shown]
	s_wait_loadcnt_dscnt 0x0
	v_mul_f64_e32 v[4:5], v[11:12], v[2:3]
	s_delay_alu instid0(VALU_DEP_1) | instskip(SKIP_1) | instid1(VALU_DEP_1)
	v_fma_f64 v[16:17], v[9:10], v[0:1], v[4:5]
	v_mul_f64_e32 v[0:1], v[11:12], v[0:1]
	v_fma_f64 v[10:11], v[9:10], v[2:3], -v[0:1]
	ds_load_b128 v[0:3], v8 offset:48384
	s_wait_dscnt 0x0
	v_mul_f64_e32 v[4:5], v[20:21], v[2:3]
	s_delay_alu instid0(VALU_DEP_1) | instskip(SKIP_1) | instid1(VALU_DEP_1)
	v_fma_f64 v[12:13], v[18:19], v[0:1], v[4:5]
	v_mul_f64_e32 v[0:1], v[20:21], v[0:1]
	v_fma_f64 v[14:15], v[18:19], v[2:3], -v[0:1]
	scratch_load_b128 v[18:21], off, off offset:796 th:TH_LOAD_LU ; 16-byte Folded Reload
	ds_load_b128 v[2:5], v8 offset:32832
	s_wait_loadcnt_dscnt 0x0
	v_mul_f64_e32 v[0:1], v[20:21], v[4:5]
	s_delay_alu instid0(VALU_DEP_1) | instskip(SKIP_1) | instid1(VALU_DEP_1)
	v_fma_f64 v[0:1], v[18:19], v[2:3], v[0:1]
	v_mul_f64_e32 v[2:3], v[20:21], v[2:3]
	v_fma_f64 v[2:3], v[18:19], v[4:5], -v[2:3]
	ds_load_b128 v[18:21], v8 offset:50112
	s_wait_dscnt 0x0
	v_mul_f64_e32 v[4:5], v[32:33], v[20:21]
	v_mul_f64_e32 v[6:7], v[32:33], v[18:19]
	v_add_f64_e32 v[32:33], v[24:25], v[28:29]
	s_delay_alu instid0(VALU_DEP_3) | instskip(NEXT) | instid1(VALU_DEP_3)
	v_fma_f64 v[4:5], v[30:31], v[18:19], v[4:5]
	v_fma_f64 v[6:7], v[30:31], v[20:21], -v[6:7]
	ds_load_b128 v[18:21], v8
	v_add_f64_e32 v[30:31], v[22:23], v[26:27]
	s_wait_dscnt 0x0
	v_fma_f64 v[32:33], v[32:33], -0.5, v[20:21]
	v_add_f64_e32 v[20:21], v[20:21], v[24:25]
	v_add_f64_e64 v[24:25], v[24:25], -v[28:29]
	s_delay_alu instid0(VALU_DEP_4) | instskip(SKIP_1) | instid1(VALU_DEP_4)
	v_fma_f64 v[30:31], v[30:31], -0.5, v[18:19]
	v_add_f64_e32 v[18:19], v[18:19], v[22:23]
	v_add_f64_e32 v[20:21], v[20:21], v[28:29]
	v_add_f64_e64 v[28:29], v[22:23], -v[26:27]
	s_delay_alu instid0(VALU_DEP_4) | instskip(NEXT) | instid1(VALU_DEP_4)
	v_fma_f64 v[22:23], v[24:25], s[14:15], v[30:31]
	v_add_f64_e32 v[18:19], v[18:19], v[26:27]
	v_fma_f64 v[26:27], v[24:25], s[12:13], v[30:31]
	s_delay_alu instid0(VALU_DEP_4)
	v_fma_f64 v[24:25], v[28:29], s[12:13], v[32:33]
	v_fma_f64 v[28:29], v[28:29], s[14:15], v[32:33]
	ds_load_b128 v[30:33], v8 offset:15552
	ds_load_b128 v[34:37], v8 offset:1728
	;; [unrolled: 1-line block ×9, first 2 shown]
	global_wb scope:SCOPE_SE
	s_wait_dscnt 0x0
	s_barrier_signal -1
	s_barrier_wait -1
	global_inv scope:SCOPE_SE
	scratch_load_b32 v9, off, off offset:992 th:TH_LOAD_LU ; 4-byte Folded Reload
	s_wait_loadcnt 0x0
	ds_store_b128 v9, v[18:21]
	ds_store_b128 v9, v[22:25] offset:48
	ds_store_b128 v9, v[26:29] offset:96
	scratch_load_b32 v9, off, off offset:936 th:TH_LOAD_LU ; 4-byte Folded Reload
	v_add_f64_e32 v[18:19], v[66:67], v[70:71]
	v_add_f64_e32 v[22:23], v[34:35], v[66:67]
	v_add_f64_e64 v[26:27], v[68:69], -v[72:73]
	s_delay_alu instid0(VALU_DEP_3) | instskip(SKIP_2) | instid1(VALU_DEP_2)
	v_fma_f64 v[24:25], v[18:19], -0.5, v[34:35]
	v_add_f64_e32 v[18:19], v[68:69], v[72:73]
	v_add_f64_e64 v[34:35], v[66:67], -v[70:71]
	v_fma_f64 v[28:29], v[18:19], -0.5, v[36:37]
	v_add_f64_e32 v[18:19], v[36:37], v[68:69]
	s_delay_alu instid0(VALU_DEP_1)
	v_add_f64_e32 v[20:21], v[18:19], v[72:73]
	v_add_f64_e32 v[18:19], v[22:23], v[70:71]
	v_fma_f64 v[22:23], v[26:27], s[14:15], v[24:25]
	v_fma_f64 v[26:27], v[26:27], s[12:13], v[24:25]
	v_fma_f64 v[24:25], v[34:35], s[12:13], v[28:29]
	v_fma_f64 v[28:29], v[34:35], s[14:15], v[28:29]
	s_wait_loadcnt 0x0
	ds_store_b128 v9, v[18:21]
	ds_store_b128 v9, v[22:25] offset:48
	ds_store_b128 v9, v[26:29] offset:96
	scratch_load_b32 v9, off, off offset:932 th:TH_LOAD_LU ; 4-byte Folded Reload
	v_add_f64_e32 v[18:19], v[74:75], v[78:79]
	v_add_f64_e32 v[22:23], v[38:39], v[74:75]
	v_add_f64_e64 v[26:27], v[76:77], -v[80:81]
	v_add_f64_e64 v[34:35], v[74:75], -v[78:79]
	s_delay_alu instid0(VALU_DEP_4) | instskip(SKIP_1) | instid1(VALU_DEP_1)
	v_fma_f64 v[24:25], v[18:19], -0.5, v[38:39]
	v_add_f64_e32 v[18:19], v[76:77], v[80:81]
	v_fma_f64 v[28:29], v[18:19], -0.5, v[40:41]
	v_add_f64_e32 v[18:19], v[40:41], v[76:77]
	s_delay_alu instid0(VALU_DEP_1)
	v_add_f64_e32 v[20:21], v[18:19], v[80:81]
	v_add_f64_e32 v[18:19], v[22:23], v[78:79]
	v_fma_f64 v[22:23], v[26:27], s[14:15], v[24:25]
	v_fma_f64 v[26:27], v[26:27], s[12:13], v[24:25]
	v_fma_f64 v[24:25], v[34:35], s[12:13], v[28:29]
	v_fma_f64 v[28:29], v[34:35], s[14:15], v[28:29]
	s_wait_loadcnt 0x0
	ds_store_b128 v9, v[18:21]
	ds_store_b128 v9, v[22:25] offset:48
	ds_store_b128 v9, v[26:29] offset:96
	scratch_load_b32 v9, off, off offset:924 th:TH_LOAD_LU ; 4-byte Folded Reload
	v_add_f64_e32 v[18:19], v[82:83], v[86:87]
	v_add_f64_e32 v[22:23], v[42:43], v[82:83]
	v_add_f64_e64 v[26:27], v[84:85], -v[88:89]
	v_add_f64_e64 v[34:35], v[82:83], -v[86:87]
	s_delay_alu instid0(VALU_DEP_4) | instskip(SKIP_1) | instid1(VALU_DEP_1)
	v_fma_f64 v[24:25], v[18:19], -0.5, v[42:43]
	v_add_f64_e32 v[18:19], v[84:85], v[88:89]
	v_fma_f64 v[28:29], v[18:19], -0.5, v[44:45]
	v_add_f64_e32 v[18:19], v[44:45], v[84:85]
	s_delay_alu instid0(VALU_DEP_1)
	v_add_f64_e32 v[20:21], v[18:19], v[88:89]
	v_add_f64_e32 v[18:19], v[22:23], v[86:87]
	v_fma_f64 v[22:23], v[26:27], s[14:15], v[24:25]
	v_fma_f64 v[26:27], v[26:27], s[12:13], v[24:25]
	v_fma_f64 v[24:25], v[34:35], s[12:13], v[28:29]
	v_fma_f64 v[28:29], v[34:35], s[14:15], v[28:29]
	s_wait_loadcnt 0x0
	ds_store_b128 v9, v[18:21]
	ds_store_b128 v9, v[22:25] offset:48
	ds_store_b128 v9, v[26:29] offset:96
	scratch_load_b32 v9, off, off offset:852 th:TH_LOAD_LU ; 4-byte Folded Reload
	v_add_f64_e32 v[18:19], v[90:91], v[94:95]
	v_add_f64_e32 v[22:23], v[46:47], v[90:91]
	v_add_f64_e64 v[26:27], v[92:93], -v[96:97]
	v_add_f64_e64 v[34:35], v[90:91], -v[94:95]
	s_delay_alu instid0(VALU_DEP_4) | instskip(SKIP_1) | instid1(VALU_DEP_1)
	v_fma_f64 v[24:25], v[18:19], -0.5, v[46:47]
	v_add_f64_e32 v[18:19], v[92:93], v[96:97]
	v_fma_f64 v[28:29], v[18:19], -0.5, v[48:49]
	v_add_f64_e32 v[18:19], v[48:49], v[92:93]
	s_delay_alu instid0(VALU_DEP_1)
	v_add_f64_e32 v[20:21], v[18:19], v[96:97]
	v_add_f64_e32 v[18:19], v[22:23], v[94:95]
	v_fma_f64 v[22:23], v[26:27], s[14:15], v[24:25]
	v_fma_f64 v[26:27], v[26:27], s[12:13], v[24:25]
	v_fma_f64 v[24:25], v[34:35], s[12:13], v[28:29]
	v_fma_f64 v[28:29], v[34:35], s[14:15], v[28:29]
	s_wait_loadcnt 0x0
	ds_store_b128 v9, v[18:21]
	ds_store_b128 v9, v[22:25] offset:48
	ds_store_b128 v9, v[26:29] offset:96
	scratch_load_b32 v9, off, off offset:844 th:TH_LOAD_LU ; 4-byte Folded Reload
	v_add_f64_e32 v[18:19], v[98:99], v[102:103]
	v_add_f64_e32 v[22:23], v[50:51], v[98:99]
	v_add_f64_e64 v[26:27], v[100:101], -v[104:105]
	v_add_f64_e64 v[34:35], v[98:99], -v[102:103]
	s_delay_alu instid0(VALU_DEP_4) | instskip(SKIP_1) | instid1(VALU_DEP_1)
	v_fma_f64 v[24:25], v[18:19], -0.5, v[50:51]
	v_add_f64_e32 v[18:19], v[100:101], v[104:105]
	v_fma_f64 v[28:29], v[18:19], -0.5, v[52:53]
	v_add_f64_e32 v[18:19], v[52:53], v[100:101]
	s_delay_alu instid0(VALU_DEP_1)
	v_add_f64_e32 v[20:21], v[18:19], v[104:105]
	v_add_f64_e32 v[18:19], v[22:23], v[102:103]
	v_fma_f64 v[22:23], v[26:27], s[14:15], v[24:25]
	v_fma_f64 v[26:27], v[26:27], s[12:13], v[24:25]
	v_fma_f64 v[24:25], v[34:35], s[12:13], v[28:29]
	v_fma_f64 v[28:29], v[34:35], s[14:15], v[28:29]
	s_wait_loadcnt 0x0
	ds_store_b128 v9, v[18:21]
	ds_store_b128 v9, v[22:25] offset:48
	ds_store_b128 v9, v[26:29] offset:96
	scratch_load_b32 v9, off, off offset:840 th:TH_LOAD_LU ; 4-byte Folded Reload
	v_add_f64_e32 v[18:19], v[106:107], v[110:111]
	v_add_f64_e32 v[22:23], v[54:55], v[106:107]
	v_add_f64_e64 v[26:27], v[108:109], -v[112:113]
	v_add_f64_e64 v[34:35], v[106:107], -v[110:111]
	s_delay_alu instid0(VALU_DEP_4) | instskip(SKIP_1) | instid1(VALU_DEP_1)
	v_fma_f64 v[24:25], v[18:19], -0.5, v[54:55]
	v_add_f64_e32 v[18:19], v[108:109], v[112:113]
	v_fma_f64 v[28:29], v[18:19], -0.5, v[56:57]
	v_add_f64_e32 v[18:19], v[56:57], v[108:109]
	s_delay_alu instid0(VALU_DEP_1)
	v_add_f64_e32 v[20:21], v[18:19], v[112:113]
	v_add_f64_e32 v[18:19], v[22:23], v[110:111]
	v_fma_f64 v[22:23], v[26:27], s[14:15], v[24:25]
	v_fma_f64 v[26:27], v[26:27], s[12:13], v[24:25]
	v_fma_f64 v[24:25], v[34:35], s[12:13], v[28:29]
	v_fma_f64 v[28:29], v[34:35], s[14:15], v[28:29]
	s_wait_loadcnt 0x0
	ds_store_b128 v9, v[18:21]
	ds_store_b128 v9, v[22:25] offset:48
	ds_store_b128 v9, v[26:29] offset:96
	scratch_load_b32 v9, off, off offset:832 th:TH_LOAD_LU ; 4-byte Folded Reload
	v_add_f64_e32 v[18:19], v[114:115], v[118:119]
	v_add_f64_e32 v[22:23], v[58:59], v[114:115]
	v_add_f64_e64 v[26:27], v[116:117], -v[120:121]
	v_add_f64_e64 v[34:35], v[114:115], -v[118:119]
	s_delay_alu instid0(VALU_DEP_4) | instskip(SKIP_1) | instid1(VALU_DEP_1)
	v_fma_f64 v[24:25], v[18:19], -0.5, v[58:59]
	v_add_f64_e32 v[18:19], v[116:117], v[120:121]
	v_fma_f64 v[28:29], v[18:19], -0.5, v[60:61]
	v_add_f64_e32 v[18:19], v[60:61], v[116:117]
	s_delay_alu instid0(VALU_DEP_1)
	v_add_f64_e32 v[20:21], v[18:19], v[120:121]
	v_add_f64_e32 v[18:19], v[22:23], v[118:119]
	v_fma_f64 v[22:23], v[26:27], s[14:15], v[24:25]
	v_fma_f64 v[26:27], v[26:27], s[12:13], v[24:25]
	;; [unrolled: 1-line block ×4, first 2 shown]
	s_wait_loadcnt 0x0
	ds_store_b128 v9, v[18:21]
	ds_store_b128 v9, v[22:25] offset:48
	ds_store_b128 v9, v[26:29] offset:96
	v_add_f64_e32 v[18:19], v[16:17], v[12:13]
	v_add_f64_e32 v[26:27], v[62:63], v[16:17]
	v_add_f64_e64 v[28:29], v[10:11], -v[14:15]
	s_delay_alu instid0(VALU_DEP_3) | instskip(SKIP_1) | instid1(VALU_DEP_1)
	v_fma_f64 v[22:23], v[18:19], -0.5, v[62:63]
	v_add_f64_e32 v[18:19], v[10:11], v[14:15]
	v_fma_f64 v[24:25], v[18:19], -0.5, v[64:65]
	v_add_f64_e32 v[18:19], v[64:65], v[10:11]
	s_delay_alu instid0(VALU_DEP_4) | instskip(NEXT) | instid1(VALU_DEP_2)
	v_fma_f64 v[9:10], v[28:29], s[14:15], v[22:23]
	v_add_f64_e32 v[20:21], v[18:19], v[14:15]
	v_add_f64_e64 v[15:16], v[16:17], -v[12:13]
	scratch_load_b32 v17, off, off offset:1176 th:TH_LOAD_LU ; 4-byte Folded Reload
	v_add_f64_e32 v[18:19], v[26:27], v[12:13]
	v_fma_f64 v[13:14], v[28:29], s[12:13], v[22:23]
	v_fma_f64 v[11:12], v[15:16], s[12:13], v[24:25]
	;; [unrolled: 1-line block ×3, first 2 shown]
	s_wait_loadcnt 0x0
	ds_store_b128 v17, v[18:21]
	ds_store_b128 v17, v[9:12] offset:48
	ds_store_b128 v17, v[13:16] offset:96
	v_add_f64_e32 v[9:10], v[0:1], v[4:5]
	v_add_f64_e32 v[17:18], v[30:31], v[0:1]
	s_delay_alu instid0(VALU_DEP_2) | instskip(SKIP_1) | instid1(VALU_DEP_1)
	v_fma_f64 v[13:14], v[9:10], -0.5, v[30:31]
	v_add_f64_e32 v[9:10], v[2:3], v[6:7]
	v_fma_f64 v[15:16], v[9:10], -0.5, v[32:33]
	v_add_f64_e32 v[9:10], v[32:33], v[2:3]
	v_add_f64_e64 v[2:3], v[2:3], -v[6:7]
	s_delay_alu instid0(VALU_DEP_2) | instskip(SKIP_2) | instid1(VALU_DEP_4)
	v_add_f64_e32 v[11:12], v[9:10], v[6:7]
	v_add_f64_e32 v[9:10], v[17:18], v[4:5]
	v_add_f64_e64 v[6:7], v[0:1], -v[4:5]
	v_fma_f64 v[0:1], v[2:3], s[14:15], v[13:14]
	v_fma_f64 v[4:5], v[2:3], s[12:13], v[13:14]
	scratch_load_b32 v13, off, off offset:1156 th:TH_LOAD_LU ; 4-byte Folded Reload
	v_fma_f64 v[2:3], v[6:7], s[12:13], v[15:16]
	v_fma_f64 v[6:7], v[6:7], s[14:15], v[15:16]
	s_wait_loadcnt 0x0
	ds_store_b128 v13, v[9:12]
	ds_store_b128 v13, v[0:3] offset:48
	ds_store_b128 v13, v[4:7] offset:96
	global_wb scope:SCOPE_SE
	s_wait_dscnt 0x0
	s_barrier_signal -1
	s_barrier_wait -1
	global_inv scope:SCOPE_SE
	s_clause 0x1
	scratch_load_b128 v[9:12], off, off offset:856 th:TH_LOAD_LU
	scratch_load_b128 v[16:19], off, off offset:1092 th:TH_LOAD_LU
	ds_load_b128 v[0:3], v8 offset:5184
	s_wait_loadcnt_dscnt 0x100
	v_mul_f64_e32 v[4:5], v[11:12], v[2:3]
	s_delay_alu instid0(VALU_DEP_1) | instskip(SKIP_1) | instid1(VALU_DEP_1)
	v_fma_f64 v[40:41], v[9:10], v[0:1], v[4:5]
	v_mul_f64_e32 v[0:1], v[11:12], v[0:1]
	v_fma_f64 v[42:43], v[9:10], v[2:3], -v[0:1]
	scratch_load_b128 v[9:12], off, off offset:872 th:TH_LOAD_LU ; 16-byte Folded Reload
	ds_load_b128 v[0:3], v8 offset:10368
	s_wait_loadcnt_dscnt 0x0
	v_mul_f64_e32 v[4:5], v[11:12], v[2:3]
	s_delay_alu instid0(VALU_DEP_1) | instskip(SKIP_1) | instid1(VALU_DEP_1)
	v_fma_f64 v[44:45], v[9:10], v[0:1], v[4:5]
	v_mul_f64_e32 v[0:1], v[11:12], v[0:1]
	v_fma_f64 v[50:51], v[9:10], v[2:3], -v[0:1]
	scratch_load_b128 v[9:12], off, off offset:888 th:TH_LOAD_LU ; 16-byte Folded Reload
	ds_load_b128 v[0:3], v8 offset:15552
	s_wait_loadcnt_dscnt 0x0
	v_mul_f64_e32 v[4:5], v[11:12], v[2:3]
	s_delay_alu instid0(VALU_DEP_1) | instskip(SKIP_1) | instid1(VALU_DEP_1)
	v_fma_f64 v[52:53], v[9:10], v[0:1], v[4:5]
	v_mul_f64_e32 v[0:1], v[11:12], v[0:1]
	v_fma_f64 v[54:55], v[9:10], v[2:3], -v[0:1]
	scratch_load_b128 v[9:12], off, off offset:908 th:TH_LOAD_LU ; 16-byte Folded Reload
	ds_load_b128 v[0:3], v8 offset:20736
	s_wait_loadcnt_dscnt 0x0
	v_mul_f64_e32 v[4:5], v[11:12], v[2:3]
	s_delay_alu instid0(VALU_DEP_1) | instskip(SKIP_1) | instid1(VALU_DEP_1)
	v_fma_f64 v[56:57], v[9:10], v[0:1], v[4:5]
	v_mul_f64_e32 v[0:1], v[11:12], v[0:1]
	v_fma_f64 v[60:61], v[9:10], v[2:3], -v[0:1]
	scratch_load_b128 v[9:12], off, off offset:944 th:TH_LOAD_LU ; 16-byte Folded Reload
	ds_load_b128 v[0:3], v8 offset:25920
	s_wait_loadcnt_dscnt 0x0
	v_mul_f64_e32 v[4:5], v[11:12], v[2:3]
	s_delay_alu instid0(VALU_DEP_1) | instskip(SKIP_1) | instid1(VALU_DEP_1)
	v_fma_f64 v[62:63], v[9:10], v[0:1], v[4:5]
	v_mul_f64_e32 v[0:1], v[11:12], v[0:1]
	v_fma_f64 v[64:65], v[9:10], v[2:3], -v[0:1]
	scratch_load_b128 v[9:12], off, off offset:960 th:TH_LOAD_LU ; 16-byte Folded Reload
	ds_load_b128 v[0:3], v8 offset:31104
	s_wait_loadcnt_dscnt 0x0
	v_mul_f64_e32 v[4:5], v[11:12], v[2:3]
	s_delay_alu instid0(VALU_DEP_1) | instskip(SKIP_1) | instid1(VALU_DEP_2)
	v_fma_f64 v[66:67], v[9:10], v[0:1], v[4:5]
	v_mul_f64_e32 v[0:1], v[11:12], v[0:1]
	v_add_f64_e64 v[118:119], v[56:57], -v[66:67]
	s_delay_alu instid0(VALU_DEP_2)
	v_fma_f64 v[68:69], v[9:10], v[2:3], -v[0:1]
	scratch_load_b128 v[9:12], off, off offset:976 th:TH_LOAD_LU ; 16-byte Folded Reload
	ds_load_b128 v[0:3], v8 offset:36288
	v_add_f64_e64 v[114:115], v[60:61], -v[68:69]
	s_wait_loadcnt_dscnt 0x0
	v_mul_f64_e32 v[4:5], v[11:12], v[2:3]
	s_delay_alu instid0(VALU_DEP_1) | instskip(SKIP_1) | instid1(VALU_DEP_2)
	v_fma_f64 v[70:71], v[9:10], v[0:1], v[4:5]
	v_mul_f64_e32 v[0:1], v[11:12], v[0:1]
	v_add_f64_e64 v[102:103], v[62:63], -v[70:71]
	s_delay_alu instid0(VALU_DEP_2)
	v_fma_f64 v[72:73], v[9:10], v[2:3], -v[0:1]
	scratch_load_b128 v[9:12], off, off offset:996 th:TH_LOAD_LU ; 16-byte Folded Reload
	ds_load_b128 v[0:3], v8 offset:41472
	v_add_f64_e64 v[106:107], v[64:65], -v[72:73]
	;; [unrolled: 11-line block ×4, first 2 shown]
	s_wait_loadcnt_dscnt 0x0
	v_mul_f64_e32 v[4:5], v[11:12], v[2:3]
	s_delay_alu instid0(VALU_DEP_1) | instskip(SKIP_1) | instid1(VALU_DEP_1)
	v_fma_f64 v[30:31], v[9:10], v[0:1], v[4:5]
	v_mul_f64_e32 v[0:1], v[11:12], v[0:1]
	v_fma_f64 v[28:29], v[9:10], v[2:3], -v[0:1]
	scratch_load_b128 v[9:12], off, off offset:1044 th:TH_LOAD_LU ; 16-byte Folded Reload
	ds_load_b128 v[0:3], v8 offset:12096
	s_wait_loadcnt_dscnt 0x0
	v_mul_f64_e32 v[4:5], v[11:12], v[2:3]
	s_delay_alu instid0(VALU_DEP_1) | instskip(SKIP_1) | instid1(VALU_DEP_1)
	v_fma_f64 v[58:59], v[9:10], v[0:1], v[4:5]
	v_mul_f64_e32 v[0:1], v[11:12], v[0:1]
	v_fma_f64 v[100:101], v[9:10], v[2:3], -v[0:1]
	scratch_load_b128 v[9:12], off, off offset:1060 th:TH_LOAD_LU ; 16-byte Folded Reload
	ds_load_b128 v[0:3], v8 offset:17280
	;; [unrolled: 8-line block ×3, first 2 shown]
	s_wait_loadcnt_dscnt 0x0
	v_mul_f64_e32 v[4:5], v[11:12], v[2:3]
	s_delay_alu instid0(VALU_DEP_1) | instskip(SKIP_1) | instid1(VALU_DEP_1)
	v_fma_f64 v[14:15], v[9:10], v[0:1], v[4:5]
	v_mul_f64_e32 v[0:1], v[11:12], v[0:1]
	v_fma_f64 v[12:13], v[9:10], v[2:3], -v[0:1]
	ds_load_b128 v[0:3], v8 offset:27648
	s_wait_dscnt 0x0
	v_mul_f64_e32 v[4:5], v[18:19], v[2:3]
	s_delay_alu instid0(VALU_DEP_1)
	v_fma_f64 v[26:27], v[16:17], v[0:1], v[4:5]
	v_mul_f64_e32 v[0:1], v[18:19], v[0:1]
	scratch_load_b128 v[18:21], off, off offset:1108 th:TH_LOAD_LU ; 16-byte Folded Reload
	v_fma_f64 v[16:17], v[16:17], v[2:3], -v[0:1]
	ds_load_b128 v[0:3], v8 offset:32832
	s_wait_loadcnt_dscnt 0x0
	v_mul_f64_e32 v[4:5], v[20:21], v[2:3]
	s_delay_alu instid0(VALU_DEP_1) | instskip(SKIP_1) | instid1(VALU_DEP_1)
	v_fma_f64 v[24:25], v[18:19], v[0:1], v[4:5]
	v_mul_f64_e32 v[0:1], v[20:21], v[0:1]
	v_fma_f64 v[34:35], v[18:19], v[2:3], -v[0:1]
	scratch_load_b128 v[18:21], off, off offset:1124 th:TH_LOAD_LU ; 16-byte Folded Reload
	ds_load_b128 v[0:3], v8 offset:38016
	s_wait_loadcnt_dscnt 0x0
	v_mul_f64_e32 v[4:5], v[20:21], v[2:3]
	s_delay_alu instid0(VALU_DEP_1) | instskip(SKIP_2) | instid1(VALU_DEP_2)
	v_fma_f64 v[22:23], v[18:19], v[0:1], v[4:5]
	v_mul_f64_e32 v[0:1], v[20:21], v[0:1]
	v_add_f64_e32 v[20:21], v[42:43], v[54:55]
	v_fma_f64 v[10:11], v[18:19], v[2:3], -v[0:1]
	ds_load_b128 v[0:3], v8 offset:43200
	v_add_f64_e32 v[20:21], v[20:21], v[64:65]
	s_wait_dscnt 0x0
	v_mul_f64_e32 v[4:5], v[250:251], v[2:3]
	s_delay_alu instid0(VALU_DEP_2) | instskip(NEXT) | instid1(VALU_DEP_2)
	v_add_f64_e32 v[20:21], v[20:21], v[72:73]
	v_fma_f64 v[46:47], v[248:249], v[0:1], v[4:5]
	v_mul_f64_e32 v[0:1], v[250:251], v[0:1]
	s_delay_alu instid0(VALU_DEP_3) | instskip(NEXT) | instid1(VALU_DEP_2)
	v_add_f64_e32 v[38:39], v[20:21], v[80:81]
	v_fma_f64 v[4:5], v[248:249], v[2:3], -v[0:1]
	ds_load_b128 v[0:3], v8 offset:48384
	s_wait_dscnt 0x0
	v_mul_f64_e32 v[6:7], v[246:247], v[2:3]
	s_delay_alu instid0(VALU_DEP_1) | instskip(SKIP_1) | instid1(VALU_DEP_1)
	v_fma_f64 v[32:33], v[244:245], v[0:1], v[6:7]
	v_mul_f64_e32 v[0:1], v[246:247], v[0:1]
	v_fma_f64 v[6:7], v[244:245], v[2:3], -v[0:1]
	ds_load_b128 v[0:3], v8 offset:8640
	s_wait_dscnt 0x0
	v_mul_f64_e32 v[18:19], v[242:243], v[2:3]
	s_delay_alu instid0(VALU_DEP_1) | instskip(SKIP_1) | instid1(VALU_DEP_1)
	v_fma_f64 v[244:245], v[240:241], v[0:1], v[18:19]
	v_mul_f64_e32 v[0:1], v[242:243], v[0:1]
	;; [unrolled: 7-line block ×9, first 2 shown]
	v_fma_f64 v[248:249], v[200:201], v[2:3], -v[0:1]
	ds_load_b128 v[0:3], v8 offset:50112
	s_wait_dscnt 0x0
	v_mul_f64_e32 v[18:19], v[198:199], v[2:3]
	s_delay_alu instid0(VALU_DEP_1) | instskip(SKIP_2) | instid1(VALU_DEP_2)
	v_fma_f64 v[250:251], v[196:197], v[0:1], v[18:19]
	v_mul_f64_e32 v[0:1], v[198:199], v[0:1]
	v_add_f64_e32 v[18:19], v[56:57], v[66:67]
	v_fma_f64 v[206:207], v[196:197], v[2:3], -v[0:1]
	ds_load_b128 v[0:3], v8
	s_wait_dscnt 0x0
	v_fma_f64 v[82:83], v[18:19], -0.5, v[0:1]
	v_add_f64_e32 v[18:19], v[44:45], v[74:75]
	s_delay_alu instid0(VALU_DEP_1) | instskip(SKIP_2) | instid1(VALU_DEP_2)
	v_fma_f64 v[84:85], v[18:19], -0.5, v[0:1]
	v_add_f64_e32 v[18:19], v[60:61], v[68:69]
	v_add_f64_e32 v[0:1], v[0:1], v[44:45]
	v_fma_f64 v[86:87], v[18:19], -0.5, v[2:3]
	v_add_f64_e32 v[18:19], v[50:51], v[76:77]
	s_delay_alu instid0(VALU_DEP_3) | instskip(NEXT) | instid1(VALU_DEP_2)
	v_add_f64_e32 v[0:1], v[0:1], v[56:57]
	v_fma_f64 v[88:89], v[18:19], -0.5, v[2:3]
	v_add_f64_e32 v[2:3], v[2:3], v[50:51]
	v_add_f64_e32 v[18:19], v[40:41], v[52:53]
	s_delay_alu instid0(VALU_DEP_4) | instskip(NEXT) | instid1(VALU_DEP_3)
	v_add_f64_e32 v[0:1], v[0:1], v[66:67]
	v_add_f64_e32 v[2:3], v[2:3], v[60:61]
	s_delay_alu instid0(VALU_DEP_3) | instskip(NEXT) | instid1(VALU_DEP_3)
	v_add_f64_e32 v[18:19], v[18:19], v[62:63]
	v_add_f64_e32 v[0:1], v[0:1], v[74:75]
	s_delay_alu instid0(VALU_DEP_3) | instskip(NEXT) | instid1(VALU_DEP_3)
	v_add_f64_e32 v[2:3], v[2:3], v[68:69]
	v_add_f64_e32 v[18:19], v[18:19], v[70:71]
	s_delay_alu instid0(VALU_DEP_2) | instskip(NEXT) | instid1(VALU_DEP_2)
	v_add_f64_e32 v[2:3], v[2:3], v[76:77]
	v_add_f64_e32 v[36:37], v[18:19], v[78:79]
	s_delay_alu instid0(VALU_DEP_2) | instskip(NEXT) | instid1(VALU_DEP_2)
	v_add_f64_e32 v[20:21], v[2:3], v[38:39]
	v_add_f64_e32 v[18:19], v[0:1], v[36:37]
	v_add_f64_e64 v[196:197], v[0:1], -v[36:37]
	v_add_f64_e64 v[198:199], v[2:3], -v[38:39]
	;; [unrolled: 1-line block ×9, first 2 shown]
	v_add_f64_e32 v[0:1], v[0:1], v[2:3]
	v_add_f64_e64 v[2:3], v[50:51], -v[60:61]
	v_add_f64_e64 v[50:51], v[60:61], -v[50:51]
	;; [unrolled: 1-line block ×4, first 2 shown]
	v_add_f64_e32 v[44:45], v[44:45], v[56:57]
	v_add_f64_e64 v[76:77], v[26:27], -v[22:23]
	v_add_f64_e32 v[2:3], v[2:3], v[36:37]
	v_add_f64_e64 v[36:37], v[52:53], -v[62:63]
	v_add_f64_e32 v[56:57], v[50:51], v[60:61]
	s_delay_alu instid0(VALU_DEP_2) | instskip(SKIP_2) | instid1(VALU_DEP_1)
	v_add_f64_e32 v[90:91], v[36:37], v[38:39]
	v_add_f64_e64 v[36:37], v[54:55], -v[64:65]
	v_add_f64_e64 v[38:39], v[80:81], -v[72:73]
	v_add_f64_e32 v[92:93], v[36:37], v[38:39]
	v_add_f64_e32 v[36:37], v[62:63], v[70:71]
	v_add_f64_e64 v[62:63], v[62:63], -v[52:53]
	v_add_f64_e32 v[52:53], v[52:53], v[78:79]
	v_add_f64_e64 v[78:79], v[48:49], -v[6:7]
	s_delay_alu instid0(VALU_DEP_4)
	v_fma_f64 v[94:95], v[36:37], -0.5, v[40:41]
	v_add_f64_e32 v[36:37], v[64:65], v[72:73]
	v_add_f64_e64 v[64:65], v[64:65], -v[54:55]
	v_add_f64_e32 v[54:55], v[54:55], v[80:81]
	v_fma_f64 v[60:61], v[52:53], -0.5, v[40:41]
	v_add_f64_e32 v[62:63], v[62:63], v[66:67]
	v_add_f64_e64 v[80:81], v[16:17], -v[10:11]
	v_fma_f64 v[38:39], v[104:105], s[24:25], v[94:95]
	v_fma_f64 v[96:97], v[36:37], -0.5, v[42:43]
	v_add_f64_e32 v[64:65], v[64:65], v[68:69]
	v_fma_f64 v[54:55], v[54:55], -0.5, v[42:43]
	v_fma_f64 v[42:43], v[106:107], s[22:23], v[60:61]
	v_fma_f64 v[38:39], v[106:107], s[20:21], v[38:39]
	;; [unrolled: 1-line block ×3, first 2 shown]
	s_delay_alu instid0(VALU_DEP_4) | instskip(NEXT) | instid1(VALU_DEP_4)
	v_fma_f64 v[40:41], v[102:103], s[24:25], v[54:55]
	v_fma_f64 v[42:43], v[104:105], s[20:21], v[42:43]
	;; [unrolled: 1-line block ×8, first 2 shown]
	s_delay_alu instid0(VALU_DEP_4) | instskip(NEXT) | instid1(VALU_DEP_4)
	v_fma_f64 v[36:37], v[92:93], s[18:19], v[36:37]
	v_fma_f64 v[40:41], v[64:65], s[18:19], v[40:41]
	s_delay_alu instid0(VALU_DEP_3) | instskip(SKIP_1) | instid1(VALU_DEP_4)
	v_fma_f64 v[54:55], v[64:65], s[18:19], v[54:55]
	v_fma_f64 v[64:65], v[112:113], s[22:23], v[82:83]
	v_mul_f64_e32 v[108:109], s[20:21], v[36:37]
	v_mul_f64_e32 v[36:37], s[26:27], v[36:37]
	;; [unrolled: 1-line block ×4, first 2 shown]
	v_fma_f64 v[64:65], v[114:115], s[16:17], v[64:65]
	v_fma_f64 v[108:109], v[38:39], s[26:27], v[108:109]
	;; [unrolled: 1-line block ×9, first 2 shown]
	v_add_f64_e64 v[82:83], v[100:101], -v[4:5]
	v_fma_f64 v[40:41], v[112:113], s[20:21], v[40:41]
	v_fma_f64 v[42:43], v[116:117], s[16:17], v[42:43]
	;; [unrolled: 1-line block ×4, first 2 shown]
	s_delay_alu instid0(VALU_DEP_4) | instskip(NEXT) | instid1(VALU_DEP_4)
	v_fma_f64 v[66:67], v[44:45], s[18:19], v[40:41]
	v_fma_f64 v[68:69], v[56:57], s[18:19], v[42:43]
	s_delay_alu instid0(VALU_DEP_4) | instskip(NEXT) | instid1(VALU_DEP_4)
	v_fma_f64 v[120:121], v[0:1], s[18:19], v[36:37]
	v_fma_f64 v[122:123], v[2:3], s[18:19], v[38:39]
	;; [unrolled: 1-line block ×3, first 2 shown]
	v_add_f64_e32 v[40:41], v[66:67], v[50:51]
	v_add_f64_e64 v[50:51], v[66:67], -v[50:51]
	v_fma_f64 v[66:67], v[114:115], s[24:25], v[84:85]
	v_add_f64_e32 v[42:43], v[68:69], v[52:53]
	v_add_f64_e64 v[52:53], v[68:69], -v[52:53]
	v_fma_f64 v[68:69], v[104:105], s[22:23], v[94:95]
	v_add_f64_e32 v[36:37], v[120:121], v[108:109]
	v_add_f64_e32 v[38:39], v[122:123], v[110:111]
	v_add_f64_e64 v[200:201], v[120:121], -v[108:109]
	v_add_f64_e64 v[202:203], v[122:123], -v[110:111]
	v_add_f64_e64 v[84:85], v[12:13], -v[34:35]
	v_fma_f64 v[66:67], v[112:113], s[16:17], v[66:67]
	v_fma_f64 v[68:69], v[106:107], s[16:17], v[68:69]
	s_delay_alu instid0(VALU_DEP_2) | instskip(SKIP_2) | instid1(VALU_DEP_4)
	v_fma_f64 v[44:45], v[44:45], s[18:19], v[66:67]
	v_fma_f64 v[66:67], v[118:119], s[22:23], v[88:89]
	v_add_f64_e64 v[88:89], v[14:15], -v[24:25]
	v_fma_f64 v[64:65], v[90:91], s[18:19], v[68:69]
	s_delay_alu instid0(VALU_DEP_3) | instskip(NEXT) | instid1(VALU_DEP_1)
	v_fma_f64 v[66:67], v[116:117], s[20:21], v[66:67]
	v_fma_f64 v[66:67], v[56:57], s[18:19], v[66:67]
	;; [unrolled: 1-line block ×3, first 2 shown]
	v_mul_f64_e32 v[60:61], s[24:25], v[54:55]
	v_mul_f64_e32 v[54:55], s[28:29], v[54:55]
	s_delay_alu instid0(VALU_DEP_3) | instskip(NEXT) | instid1(VALU_DEP_1)
	v_fma_f64 v[56:57], v[104:105], s[16:17], v[56:57]
	v_fma_f64 v[56:57], v[62:63], s[18:19], v[56:57]
	s_delay_alu instid0(VALU_DEP_1) | instskip(NEXT) | instid1(VALU_DEP_4)
	v_fma_f64 v[60:61], v[56:57], s[28:29], v[60:61]
	v_fma_f64 v[62:63], v[56:57], s[22:23], v[54:55]
	s_delay_alu instid0(VALU_DEP_2) | instskip(SKIP_2) | instid1(VALU_DEP_4)
	v_add_f64_e32 v[54:55], v[44:45], v[60:61]
	v_add_f64_e64 v[60:61], v[44:45], -v[60:61]
	v_fma_f64 v[44:45], v[98:99], s[24:25], v[96:97]
	v_add_f64_e32 v[56:57], v[66:67], v[62:63]
	v_add_f64_e64 v[62:63], v[66:67], -v[62:63]
	v_fma_f64 v[66:67], v[116:117], s[24:25], v[86:87]
	v_add_f64_e64 v[86:87], v[58:59], -v[46:47]
	v_fma_f64 v[44:45], v[102:103], s[20:21], v[44:45]
	s_delay_alu instid0(VALU_DEP_3) | instskip(NEXT) | instid1(VALU_DEP_2)
	v_fma_f64 v[66:67], v[118:119], s[20:21], v[66:67]
	v_fma_f64 v[44:45], v[92:93], s[18:19], v[44:45]
	s_delay_alu instid0(VALU_DEP_2) | instskip(NEXT) | instid1(VALU_DEP_2)
	v_fma_f64 v[2:3], v[2:3], s[18:19], v[66:67]
	v_mul_f64_e32 v[66:67], s[20:21], v[44:45]
	v_mul_f64_e32 v[44:45], s[30:31], v[44:45]
	s_delay_alu instid0(VALU_DEP_2) | instskip(NEXT) | instid1(VALU_DEP_2)
	v_fma_f64 v[68:69], v[64:65], s[30:31], v[66:67]
	v_fma_f64 v[44:45], v[64:65], s[16:17], v[44:45]
	s_delay_alu instid0(VALU_DEP_2) | instskip(NEXT) | instid1(VALU_DEP_2)
	v_add_f64_e32 v[64:65], v[0:1], v[68:69]
	v_add_f64_e32 v[66:67], v[2:3], v[44:45]
	v_add_f64_e64 v[68:69], v[0:1], -v[68:69]
	v_add_f64_e64 v[70:71], v[2:3], -v[44:45]
	ds_load_b128 v[72:75], v8 offset:1728
	ds_load_b128 v[0:3], v8 offset:3456
	global_wb scope:SCOPE_SE
	s_wait_dscnt 0x0
	s_barrier_signal -1
	s_barrier_wait -1
	global_inv scope:SCOPE_SE
	scratch_load_b32 v9, off, off offset:1620 th:TH_LOAD_LU ; 4-byte Folded Reload
	s_wait_loadcnt 0x0
	ds_store_b128 v9, v[18:21]
	ds_store_b128 v9, v[196:199] offset:720
	ds_store_b128 v9, v[36:39] offset:144
	;; [unrolled: 1-line block ×9, first 2 shown]
	v_add_f64_e32 v[18:19], v[14:15], v[24:25]
	v_add_f64_e32 v[20:21], v[74:75], v[100:101]
	;; [unrolled: 1-line block ×4, first 2 shown]
	s_delay_alu instid0(VALU_DEP_4) | instskip(SKIP_4) | instid1(VALU_DEP_4)
	v_fma_f64 v[44:45], v[18:19], -0.5, v[72:73]
	v_add_f64_e32 v[18:19], v[58:59], v[46:47]
	v_add_f64_e32 v[20:21], v[20:21], v[12:13]
	;; [unrolled: 1-line block ×4, first 2 shown]
	v_fma_f64 v[54:55], v[18:19], -0.5, v[72:73]
	v_add_f64_e32 v[18:19], v[12:13], v[34:35]
	v_add_f64_e32 v[20:21], v[20:21], v[34:35]
	v_add_f64_e32 v[36:37], v[36:37], v[22:23]
	v_add_f64_e32 v[38:39], v[38:39], v[10:11]
	s_delay_alu instid0(VALU_DEP_4) | instskip(SKIP_4) | instid1(VALU_DEP_4)
	v_fma_f64 v[56:57], v[18:19], -0.5, v[74:75]
	v_add_f64_e32 v[18:19], v[100:101], v[4:5]
	v_add_f64_e32 v[42:43], v[20:21], v[4:5]
	;; [unrolled: 1-line block ×4, first 2 shown]
	v_fma_f64 v[60:61], v[18:19], -0.5, v[74:75]
	v_add_f64_e32 v[18:19], v[72:73], v[58:59]
	v_add_f64_e64 v[74:75], v[126:127], -v[32:33]
	s_delay_alu instid0(VALU_DEP_4) | instskip(SKIP_3) | instid1(VALU_DEP_1)
	v_add_f64_e32 v[20:21], v[42:43], v[38:39]
	v_add_f64_e64 v[38:39], v[42:43], -v[38:39]
	v_add_f64_e64 v[42:43], v[46:47], -v[24:25]
	v_add_f64_e32 v[18:19], v[18:19], v[14:15]
	v_add_f64_e32 v[18:19], v[18:19], v[24:25]
	v_add_f64_e64 v[24:25], v[24:25], -v[46:47]
	s_delay_alu instid0(VALU_DEP_2) | instskip(NEXT) | instid1(VALU_DEP_1)
	v_add_f64_e32 v[40:41], v[18:19], v[46:47]
	v_add_f64_e32 v[18:19], v[40:41], v[36:37]
	v_add_f64_e64 v[36:37], v[40:41], -v[36:37]
	v_add_f64_e64 v[40:41], v[58:59], -v[14:15]
	;; [unrolled: 1-line block ×3, first 2 shown]
	s_delay_alu instid0(VALU_DEP_2)
	v_add_f64_e32 v[62:63], v[40:41], v[42:43]
	v_add_f64_e64 v[40:41], v[100:101], -v[12:13]
	v_add_f64_e64 v[42:43], v[4:5], -v[34:35]
	;; [unrolled: 1-line block ×3, first 2 shown]
	v_add_f64_e32 v[34:35], v[126:127], v[32:33]
	v_add_f64_e64 v[12:13], v[12:13], -v[100:101]
	v_add_f64_e32 v[14:15], v[14:15], v[24:25]
	v_add_f64_e32 v[64:65], v[40:41], v[42:43]
	v_add_f64_e64 v[40:41], v[126:127], -v[26:27]
	v_add_f64_e64 v[42:43], v[32:33], -v[22:23]
	v_add_f64_e32 v[24:25], v[12:13], v[4:5]
	s_delay_alu instid0(VALU_DEP_2) | instskip(SKIP_2) | instid1(VALU_DEP_1)
	v_add_f64_e32 v[66:67], v[40:41], v[42:43]
	v_add_f64_e64 v[40:41], v[48:49], -v[16:17]
	v_add_f64_e64 v[42:43], v[6:7], -v[10:11]
	v_add_f64_e32 v[68:69], v[40:41], v[42:43]
	v_add_f64_e32 v[40:41], v[26:27], v[22:23]
	v_add_f64_e64 v[22:23], v[22:23], -v[32:33]
	v_add_f64_e32 v[32:33], v[48:49], v[6:7]
	v_add_f64_e64 v[6:7], v[10:11], -v[6:7]
	v_add_f64_e64 v[26:27], v[26:27], -v[126:127]
	v_fma_f64 v[70:71], v[40:41], -0.5, v[30:31]
	v_add_f64_e32 v[40:41], v[16:17], v[10:11]
	v_add_f64_e64 v[16:17], v[16:17], -v[48:49]
	v_fma_f64 v[30:31], v[34:35], -0.5, v[30:31]
	v_add_f64_e32 v[22:23], v[26:27], v[22:23]
	v_fma_f64 v[42:43], v[78:79], s[24:25], v[70:71]
	v_fma_f64 v[72:73], v[40:41], -0.5, v[28:29]
	v_fma_f64 v[28:29], v[32:33], -0.5, v[28:29]
	v_add_f64_e32 v[16:17], v[16:17], v[6:7]
	v_fma_f64 v[6:7], v[80:81], s[22:23], v[30:31]
	v_fma_f64 v[42:43], v[80:81], s[20:21], v[42:43]
	;; [unrolled: 1-line block ×4, first 2 shown]
	s_delay_alu instid0(VALU_DEP_4) | instskip(NEXT) | instid1(VALU_DEP_4)
	v_fma_f64 v[6:7], v[78:79], s[20:21], v[6:7]
	v_fma_f64 v[42:43], v[66:67], s[18:19], v[42:43]
	s_delay_alu instid0(VALU_DEP_4) | instskip(NEXT) | instid1(VALU_DEP_4)
	v_fma_f64 v[40:41], v[76:77], s[16:17], v[40:41]
	v_fma_f64 v[4:5], v[74:75], s[16:17], v[4:5]
	s_delay_alu instid0(VALU_DEP_4) | instskip(NEXT) | instid1(VALU_DEP_3)
	v_fma_f64 v[6:7], v[22:23], s[18:19], v[6:7]
	v_fma_f64 v[40:41], v[68:69], s[18:19], v[40:41]
	s_delay_alu instid0(VALU_DEP_3) | instskip(NEXT) | instid1(VALU_DEP_2)
	v_fma_f64 v[4:5], v[16:17], s[18:19], v[4:5]
	v_mul_f64_e32 v[50:51], s[20:21], v[40:41]
	s_delay_alu instid0(VALU_DEP_2) | instskip(SKIP_2) | instid1(VALU_DEP_4)
	v_mul_f64_e32 v[9:10], s[24:25], v[4:5]
	v_mul_f64_e32 v[4:5], s[18:19], v[4:5]
	;; [unrolled: 1-line block ×3, first 2 shown]
	v_fma_f64 v[50:51], v[42:43], s[26:27], v[50:51]
	s_delay_alu instid0(VALU_DEP_4) | instskip(NEXT) | instid1(VALU_DEP_4)
	v_fma_f64 v[9:10], v[6:7], s[18:19], v[9:10]
	v_fma_f64 v[11:12], v[6:7], s[22:23], v[4:5]
	;; [unrolled: 1-line block ×9, first 2 shown]
	s_delay_alu instid0(VALU_DEP_4) | instskip(NEXT) | instid1(VALU_DEP_4)
	v_fma_f64 v[40:41], v[84:85], s[20:21], v[40:41]
	v_fma_f64 v[42:43], v[88:89], s[16:17], v[42:43]
	s_delay_alu instid0(VALU_DEP_4) | instskip(NEXT) | instid1(VALU_DEP_4)
	v_fma_f64 v[26:27], v[14:15], s[18:19], v[4:5]
	v_fma_f64 v[32:33], v[24:25], s[18:19], v[6:7]
	;; [unrolled: 3-line block ×3, first 2 shown]
	s_delay_alu instid0(VALU_DEP_4)
	v_add_f64_e32 v[4:5], v[26:27], v[9:10]
	v_add_f64_e64 v[9:10], v[26:27], -v[9:10]
	v_fma_f64 v[26:27], v[84:85], s[24:25], v[54:55]
	v_add_f64_e32 v[6:7], v[32:33], v[11:12]
	v_add_f64_e64 v[11:12], v[32:33], -v[11:12]
	v_fma_f64 v[32:33], v[78:79], s[22:23], v[70:71]
	v_add_f64_e32 v[40:41], v[90:91], v[50:51]
	v_add_f64_e32 v[42:43], v[92:93], v[52:53]
	v_add_f64_e64 v[50:51], v[90:91], -v[50:51]
	v_add_f64_e64 v[52:53], v[92:93], -v[52:53]
	v_fma_f64 v[26:27], v[82:83], s[16:17], v[26:27]
	v_fma_f64 v[32:33], v[80:81], s[16:17], v[32:33]
	s_delay_alu instid0(VALU_DEP_2) | instskip(SKIP_2) | instid1(VALU_DEP_2)
	v_fma_f64 v[26:27], v[14:15], s[18:19], v[26:27]
	v_fma_f64 v[13:14], v[88:89], s[22:23], v[60:61]
	v_add_f64_e64 v[59:60], v[228:229], -v[208:209]
	v_fma_f64 v[13:14], v[86:87], s[20:21], v[13:14]
	s_delay_alu instid0(VALU_DEP_1) | instskip(SKIP_1) | instid1(VALU_DEP_1)
	v_fma_f64 v[24:25], v[24:25], s[18:19], v[13:14]
	v_fma_f64 v[13:14], v[76:77], s[22:23], v[28:29]
	;; [unrolled: 1-line block ×3, first 2 shown]
	s_delay_alu instid0(VALU_DEP_1)
	v_fma_f64 v[13:14], v[16:17], s[18:19], v[13:14]
	v_fma_f64 v[15:16], v[80:81], s[24:25], v[30:31]
	scratch_load_b32 v17, off, off offset:1408 th:TH_LOAD_LU ; 4-byte Folded Reload
	v_fma_f64 v[30:31], v[86:87], s[24:25], v[56:57]
	v_add_f64_e64 v[55:56], v[212:213], -v[204:205]
	v_add_f64_e64 v[57:58], v[236:237], -v[248:249]
	v_fma_f64 v[15:16], v[78:79], s[16:17], v[15:16]
	s_delay_alu instid0(VALU_DEP_4) | instskip(NEXT) | instid1(VALU_DEP_2)
	v_fma_f64 v[30:31], v[88:89], s[20:21], v[30:31]
	v_fma_f64 v[15:16], v[22:23], s[18:19], v[15:16]
	v_mul_f64_e32 v[22:23], s[24:25], v[13:14]
	v_mul_f64_e32 v[13:14], s[28:29], v[13:14]
	s_delay_alu instid0(VALU_DEP_2) | instskip(NEXT) | instid1(VALU_DEP_2)
	v_fma_f64 v[22:23], v[15:16], s[28:29], v[22:23]
	v_fma_f64 v[28:29], v[15:16], s[22:23], v[13:14]
	s_delay_alu instid0(VALU_DEP_2) | instskip(SKIP_2) | instid1(VALU_DEP_4)
	v_add_f64_e32 v[13:14], v[26:27], v[22:23]
	v_add_f64_e64 v[22:23], v[26:27], -v[22:23]
	v_fma_f64 v[26:27], v[74:75], s[24:25], v[72:73]
	v_add_f64_e32 v[15:16], v[24:25], v[28:29]
	v_add_f64_e64 v[24:25], v[24:25], -v[28:29]
	v_fma_f64 v[28:29], v[82:83], s[22:23], v[44:45]
	v_fma_f64 v[44:45], v[64:65], s[18:19], v[30:31]
	v_add_f64_e64 v[71:72], v[204:205], -v[206:207]
	v_fma_f64 v[26:27], v[76:77], s[20:21], v[26:27]
	s_delay_alu instid0(VALU_DEP_4) | instskip(NEXT) | instid1(VALU_DEP_2)
	v_fma_f64 v[28:29], v[84:85], s[16:17], v[28:29]
	v_fma_f64 v[26:27], v[68:69], s[18:19], v[26:27]
	v_add_f64_e32 v[69:70], v[232:233], v[206:207]
	s_delay_alu instid0(VALU_DEP_3)
	v_fma_f64 v[34:35], v[62:63], s[18:19], v[28:29]
	v_fma_f64 v[28:29], v[66:67], s[18:19], v[32:33]
	v_add_f64_e64 v[61:62], v[242:243], -v[246:247]
	v_add_f64_e64 v[63:64], v[234:235], -v[214:215]
	;; [unrolled: 1-line block ×4, first 2 shown]
	v_mul_f64_e32 v[30:31], s[20:21], v[26:27]
	v_mul_f64_e32 v[26:27], s[30:31], v[26:27]
	v_fma_f64 v[69:70], v[69:70], -0.5, v[240:241]
	s_delay_alu instid0(VALU_DEP_3) | instskip(NEXT) | instid1(VALU_DEP_3)
	v_fma_f64 v[30:31], v[28:29], s[30:31], v[30:31]
	v_fma_f64 v[32:33], v[28:29], s[16:17], v[26:27]
	s_delay_alu instid0(VALU_DEP_2) | instskip(NEXT) | instid1(VALU_DEP_2)
	v_add_f64_e32 v[26:27], v[34:35], v[30:31]
	v_add_f64_e32 v[28:29], v[44:45], v[32:33]
	v_add_f64_e64 v[30:31], v[34:35], -v[30:31]
	v_add_f64_e64 v[32:33], v[44:45], -v[32:33]
	s_wait_loadcnt 0x0
	ds_store_b128 v17, v[18:21]
	ds_store_b128 v17, v[40:43] offset:144
	ds_store_b128 v17, v[4:7] offset:288
	;; [unrolled: 1-line block ×9, first 2 shown]
	v_add_f64_e32 v[4:5], v[234:235], v[214:215]
	v_add_f64_e32 v[6:7], v[240:241], v[232:233]
	v_add_f64_e64 v[49:50], v[238:239], -v[250:251]
	v_add_f64_e64 v[51:52], v[230:231], -v[210:211]
	v_add_f64_e64 v[53:54], v[232:233], -v[206:207]
	v_add_f64_e32 v[31:32], v[238:239], v[250:251]
	v_add_f64_e64 v[29:30], v[230:231], -v[238:239]
	v_add_f64_e64 v[21:22], v[228:229], -v[236:237]
	;; [unrolled: 1-line block ×3, first 2 shown]
	v_fma_f64 v[33:34], v[4:5], -0.5, v[0:1]
	v_add_f64_e32 v[4:5], v[242:243], v[246:247]
	v_add_f64_e32 v[6:7], v[6:7], v[212:213]
	v_fma_f64 v[31:32], v[31:32], -0.5, v[244:245]
	v_add_f64_e32 v[29:30], v[29:30], v[65:66]
	v_add_f64_e32 v[65:66], v[67:68], v[71:72]
	;; [unrolled: 1-line block ×3, first 2 shown]
	v_fma_f64 v[25:26], v[4:5], -0.5, v[0:1]
	v_add_f64_e32 v[4:5], v[228:229], v[208:209]
	v_add_f64_e32 v[0:1], v[0:1], v[242:243]
	;; [unrolled: 1-line block ×3, first 2 shown]
	s_delay_alu instid0(VALU_DEP_3) | instskip(SKIP_1) | instid1(VALU_DEP_4)
	v_fma_f64 v[35:36], v[4:5], -0.5, v[2:3]
	v_add_f64_e32 v[4:5], v[236:237], v[248:249]
	v_add_f64_e32 v[0:1], v[0:1], v[234:235]
	s_delay_alu instid0(VALU_DEP_4) | instskip(NEXT) | instid1(VALU_DEP_3)
	v_add_f64_e32 v[6:7], v[6:7], v[206:207]
	v_fma_f64 v[27:28], v[4:5], -0.5, v[2:3]
	v_add_f64_e32 v[2:3], v[2:3], v[236:237]
	v_add_f64_e32 v[4:5], v[244:245], v[238:239]
	;; [unrolled: 1-line block ×3, first 2 shown]
	s_delay_alu instid0(VALU_DEP_3) | instskip(NEXT) | instid1(VALU_DEP_3)
	v_add_f64_e32 v[2:3], v[2:3], v[228:229]
	v_add_f64_e32 v[4:5], v[4:5], v[230:231]
	s_delay_alu instid0(VALU_DEP_3) | instskip(NEXT) | instid1(VALU_DEP_3)
	v_add_f64_e32 v[9:10], v[0:1], v[246:247]
	v_add_f64_e32 v[2:3], v[2:3], v[208:209]
	s_delay_alu instid0(VALU_DEP_3) | instskip(NEXT) | instid1(VALU_DEP_2)
	v_add_f64_e32 v[4:5], v[4:5], v[210:211]
	v_add_f64_e32 v[11:12], v[2:3], v[248:249]
	s_delay_alu instid0(VALU_DEP_2) | instskip(NEXT) | instid1(VALU_DEP_2)
	v_add_f64_e32 v[4:5], v[4:5], v[250:251]
	v_add_f64_e32 v[2:3], v[11:12], v[6:7]
	s_delay_alu instid0(VALU_DEP_2) | instskip(SKIP_4) | instid1(VALU_DEP_1)
	v_add_f64_e32 v[0:1], v[9:10], v[4:5]
	v_add_f64_e64 v[4:5], v[9:10], -v[4:5]
	v_add_f64_e64 v[6:7], v[11:12], -v[6:7]
	;; [unrolled: 1-line block ×4, first 2 shown]
	v_add_f64_e32 v[37:38], v[9:10], v[11:12]
	v_add_f64_e64 v[9:10], v[236:237], -v[228:229]
	v_add_f64_e64 v[11:12], v[248:249], -v[208:209]
	s_delay_alu instid0(VALU_DEP_1) | instskip(SKIP_2) | instid1(VALU_DEP_1)
	v_add_f64_e32 v[39:40], v[9:10], v[11:12]
	v_add_f64_e64 v[9:10], v[238:239], -v[230:231]
	v_add_f64_e64 v[11:12], v[250:251], -v[210:211]
	v_add_f64_e32 v[41:42], v[9:10], v[11:12]
	v_add_f64_e64 v[9:10], v[232:233], -v[212:213]
	v_add_f64_e64 v[11:12], v[206:207], -v[204:205]
	s_delay_alu instid0(VALU_DEP_1) | instskip(SKIP_1) | instid1(VALU_DEP_1)
	v_add_f64_e32 v[43:44], v[9:10], v[11:12]
	v_add_f64_e32 v[9:10], v[230:231], v[210:211]
	v_fma_f64 v[45:46], v[9:10], -0.5, v[244:245]
	v_add_f64_e32 v[9:10], v[212:213], v[204:205]
	s_delay_alu instid0(VALU_DEP_2) | instskip(NEXT) | instid1(VALU_DEP_2)
	v_fma_f64 v[11:12], v[53:54], s[24:25], v[45:46]
	v_fma_f64 v[47:48], v[9:10], -0.5, v[240:241]
	v_fma_f64 v[45:46], v[53:54], s[22:23], v[45:46]
	s_delay_alu instid0(VALU_DEP_3) | instskip(NEXT) | instid1(VALU_DEP_3)
	v_fma_f64 v[11:12], v[55:56], s[20:21], v[11:12]
	v_fma_f64 v[9:10], v[49:50], s[22:23], v[47:48]
	;; [unrolled: 1-line block ×3, first 2 shown]
	s_delay_alu instid0(VALU_DEP_4) | instskip(NEXT) | instid1(VALU_DEP_4)
	v_fma_f64 v[45:46], v[55:56], s[16:17], v[45:46]
	v_fma_f64 v[11:12], v[41:42], s[18:19], v[11:12]
	s_delay_alu instid0(VALU_DEP_4) | instskip(NEXT) | instid1(VALU_DEP_4)
	v_fma_f64 v[9:10], v[51:52], s[16:17], v[9:10]
	v_fma_f64 v[47:48], v[51:52], s[20:21], v[47:48]
	s_delay_alu instid0(VALU_DEP_2) | instskip(NEXT) | instid1(VALU_DEP_2)
	v_fma_f64 v[9:10], v[43:44], s[18:19], v[9:10]
	v_fma_f64 v[43:44], v[43:44], s[18:19], v[47:48]
	s_delay_alu instid0(VALU_DEP_2) | instskip(SKIP_1) | instid1(VALU_DEP_2)
	v_mul_f64_e32 v[13:14], s[20:21], v[9:10]
	v_mul_f64_e32 v[9:10], s[26:27], v[9:10]
	v_fma_f64 v[13:14], v[11:12], s[26:27], v[13:14]
	s_delay_alu instid0(VALU_DEP_2) | instskip(SKIP_4) | instid1(VALU_DEP_4)
	v_fma_f64 v[15:16], v[11:12], s[16:17], v[9:10]
	v_fma_f64 v[9:10], v[57:58], s[24:25], v[33:34]
	;; [unrolled: 1-line block ×6, first 2 shown]
	s_delay_alu instid0(VALU_DEP_4) | instskip(NEXT) | instid1(VALU_DEP_4)
	v_fma_f64 v[11:12], v[63:64], s[16:17], v[11:12]
	v_fma_f64 v[33:34], v[59:60], s[16:17], v[33:34]
	s_delay_alu instid0(VALU_DEP_4) | instskip(NEXT) | instid1(VALU_DEP_4)
	v_fma_f64 v[35:36], v[63:64], s[20:21], v[35:36]
	v_fma_f64 v[17:18], v[37:38], s[18:19], v[9:10]
	;; [unrolled: 3-line block ×3, first 2 shown]
	v_fma_f64 v[33:34], v[41:42], s[18:19], v[45:46]
	v_mul_f64_e32 v[41:42], s[30:31], v[43:44]
	v_fma_f64 v[39:40], v[39:40], s[18:19], v[35:36]
	v_mul_f64_e32 v[35:36], s[20:21], v[43:44]
	v_add_f64_e32 v[9:10], v[17:18], v[13:14]
	v_add_f64_e32 v[11:12], v[19:20], v[15:16]
	v_add_f64_e64 v[13:14], v[17:18], -v[13:14]
	v_add_f64_e64 v[15:16], v[19:20], -v[15:16]
	;; [unrolled: 1-line block ×4, first 2 shown]
	v_fma_f64 v[41:42], v[33:34], s[16:17], v[41:42]
	v_fma_f64 v[43:44], v[33:34], s[30:31], v[35:36]
	s_delay_alu instid0(VALU_DEP_3)
	v_add_f64_e32 v[73:74], v[17:18], v[19:20]
	v_fma_f64 v[17:18], v[51:52], s[24:25], v[69:70]
	v_fma_f64 v[19:20], v[55:56], s[22:23], v[31:32]
	v_add_f64_e32 v[35:36], v[39:40], v[41:42]
	v_add_f64_e64 v[39:40], v[39:40], -v[41:42]
	scratch_load_b32 v41, off, off offset:1180 th:TH_LOAD_LU ; 4-byte Folded Reload
	v_add_f64_e32 v[33:34], v[37:38], v[43:44]
	v_add_f64_e64 v[37:38], v[37:38], -v[43:44]
	v_fma_f64 v[17:18], v[49:50], s[16:17], v[17:18]
	v_fma_f64 v[19:20], v[53:54], s[20:21], v[19:20]
	s_delay_alu instid0(VALU_DEP_2) | instskip(NEXT) | instid1(VALU_DEP_2)
	v_fma_f64 v[17:18], v[65:66], s[18:19], v[17:18]
	v_fma_f64 v[19:20], v[29:30], s[18:19], v[19:20]
	s_delay_alu instid0(VALU_DEP_2) | instskip(SKIP_1) | instid1(VALU_DEP_2)
	v_mul_f64_e32 v[21:22], s[24:25], v[17:18]
	v_mul_f64_e32 v[17:18], s[18:19], v[17:18]
	v_fma_f64 v[21:22], v[19:20], s[18:19], v[21:22]
	s_delay_alu instid0(VALU_DEP_2) | instskip(SKIP_3) | instid1(VALU_DEP_3)
	v_fma_f64 v[23:24], v[19:20], s[22:23], v[17:18]
	v_fma_f64 v[17:18], v[59:60], s[22:23], v[25:26]
	;; [unrolled: 1-line block ×5, first 2 shown]
	s_delay_alu instid0(VALU_DEP_3) | instskip(NEXT) | instid1(VALU_DEP_3)
	v_fma_f64 v[25:26], v[57:58], s[16:17], v[25:26]
	v_fma_f64 v[19:20], v[61:62], s[16:17], v[19:20]
	s_delay_alu instid0(VALU_DEP_3) | instskip(NEXT) | instid1(VALU_DEP_2)
	v_fma_f64 v[67:68], v[73:74], s[18:19], v[17:18]
	v_fma_f64 v[71:72], v[75:76], s[18:19], v[19:20]
	s_delay_alu instid0(VALU_DEP_2)
	v_add_f64_e32 v[17:18], v[67:68], v[21:22]
	v_add_f64_e64 v[21:22], v[67:68], -v[21:22]
	v_fma_f64 v[67:68], v[73:74], s[18:19], v[25:26]
	v_fma_f64 v[25:26], v[63:64], s[22:23], v[27:28]
	v_add_f64_e32 v[19:20], v[71:72], v[23:24]
	v_add_f64_e64 v[23:24], v[71:72], -v[23:24]
	v_fma_f64 v[27:28], v[55:56], s[24:25], v[31:32]
	s_delay_alu instid0(VALU_DEP_4) | instskip(NEXT) | instid1(VALU_DEP_2)
	v_fma_f64 v[25:26], v[61:62], s[20:21], v[25:26]
	v_fma_f64 v[27:28], v[53:54], s[16:17], v[27:28]
	s_delay_alu instid0(VALU_DEP_2) | instskip(SKIP_1) | instid1(VALU_DEP_3)
	v_fma_f64 v[71:72], v[75:76], s[18:19], v[25:26]
	v_fma_f64 v[25:26], v[51:52], s[22:23], v[69:70]
	;; [unrolled: 1-line block ×3, first 2 shown]
	s_delay_alu instid0(VALU_DEP_2) | instskip(NEXT) | instid1(VALU_DEP_1)
	v_fma_f64 v[25:26], v[49:50], s[20:21], v[25:26]
	v_fma_f64 v[25:26], v[65:66], s[18:19], v[25:26]
	s_delay_alu instid0(VALU_DEP_1) | instskip(SKIP_1) | instid1(VALU_DEP_2)
	v_mul_f64_e32 v[29:30], s[24:25], v[25:26]
	v_mul_f64_e32 v[25:26], s[28:29], v[25:26]
	v_fma_f64 v[29:30], v[27:28], s[28:29], v[29:30]
	s_delay_alu instid0(VALU_DEP_2) | instskip(NEXT) | instid1(VALU_DEP_2)
	v_fma_f64 v[31:32], v[27:28], s[22:23], v[25:26]
	v_add_f64_e32 v[25:26], v[67:68], v[29:30]
	s_delay_alu instid0(VALU_DEP_2)
	v_add_f64_e32 v[27:28], v[71:72], v[31:32]
	v_add_f64_e64 v[29:30], v[67:68], -v[29:30]
	v_add_f64_e64 v[31:32], v[71:72], -v[31:32]
	s_wait_loadcnt 0x0
	ds_store_b128 v41, v[0:3]
	ds_store_b128 v41, v[9:12] offset:144
	ds_store_b128 v41, v[17:20] offset:288
	;; [unrolled: 1-line block ×9, first 2 shown]
	global_wb scope:SCOPE_SE
	s_wait_dscnt 0x0
	s_barrier_signal -1
	s_barrier_wait -1
	global_inv scope:SCOPE_SE
	s_clause 0x1
	scratch_load_b128 v[9:12], off, off offset:1184 th:TH_LOAD_LU
	scratch_load_b128 v[16:19], off, off offset:1540 th:TH_LOAD_LU
	ds_load_b128 v[0:3], v8 offset:8640
	scratch_load_b128 v[86:89], off, off offset:1572 th:TH_LOAD_LU ; 16-byte Folded Reload
	s_wait_loadcnt_dscnt 0x200
	v_mul_f64_e32 v[4:5], v[11:12], v[2:3]
	s_delay_alu instid0(VALU_DEP_1) | instskip(SKIP_1) | instid1(VALU_DEP_1)
	v_fma_f64 v[94:95], v[9:10], v[0:1], v[4:5]
	v_mul_f64_e32 v[0:1], v[11:12], v[0:1]
	v_fma_f64 v[96:97], v[9:10], v[2:3], -v[0:1]
	scratch_load_b128 v[9:12], off, off offset:1200 th:TH_LOAD_LU ; 16-byte Folded Reload
	ds_load_b128 v[0:3], v8 offset:17280
	s_wait_loadcnt_dscnt 0x0
	v_mul_f64_e32 v[4:5], v[11:12], v[2:3]
	s_delay_alu instid0(VALU_DEP_1) | instskip(SKIP_1) | instid1(VALU_DEP_1)
	v_fma_f64 v[98:99], v[9:10], v[0:1], v[4:5]
	v_mul_f64_e32 v[0:1], v[11:12], v[0:1]
	v_fma_f64 v[100:101], v[9:10], v[2:3], -v[0:1]
	scratch_load_b128 v[9:12], off, off offset:1216 th:TH_LOAD_LU ; 16-byte Folded Reload
	ds_load_b128 v[0:3], v8 offset:25920
	;; [unrolled: 8-line block ×20, first 2 shown]
	s_wait_loadcnt_dscnt 0x0
	v_mul_f64_e32 v[4:5], v[11:12], v[2:3]
	s_delay_alu instid0(VALU_DEP_1)
	v_fma_f64 v[4:5], v[9:10], v[0:1], v[4:5]
	v_mul_f64_e32 v[0:1], v[11:12], v[0:1]
	scratch_load_b128 v[11:14], off, off offset:1524 th:TH_LOAD_LU ; 16-byte Folded Reload
	v_fma_f64 v[6:7], v[9:10], v[2:3], -v[0:1]
	ds_load_b128 v[0:3], v8 offset:24192
	s_wait_loadcnt_dscnt 0x0
	v_mul_f64_e32 v[9:10], v[13:14], v[2:3]
	s_delay_alu instid0(VALU_DEP_1) | instskip(SKIP_1) | instid1(VALU_DEP_1)
	v_fma_f64 v[84:85], v[11:12], v[0:1], v[9:10]
	v_mul_f64_e32 v[0:1], v[13:14], v[0:1]
	v_fma_f64 v[10:11], v[11:12], v[2:3], -v[0:1]
	ds_load_b128 v[0:3], v8 offset:32832
	s_wait_dscnt 0x0
	v_mul_f64_e32 v[12:13], v[18:19], v[2:3]
	s_delay_alu instid0(VALU_DEP_1)
	v_fma_f64 v[14:15], v[16:17], v[0:1], v[12:13]
	v_mul_f64_e32 v[0:1], v[18:19], v[0:1]
	scratch_load_b128 v[18:21], off, off offset:1556 th:TH_LOAD_LU ; 16-byte Folded Reload
	v_fma_f64 v[12:13], v[16:17], v[2:3], -v[0:1]
	ds_load_b128 v[0:3], v8 offset:41472
	s_wait_loadcnt_dscnt 0x0
	v_mul_f64_e32 v[16:17], v[20:21], v[2:3]
	s_delay_alu instid0(VALU_DEP_1) | instskip(SKIP_1) | instid1(VALU_DEP_1)
	v_fma_f64 v[16:17], v[18:19], v[0:1], v[16:17]
	v_mul_f64_e32 v[0:1], v[20:21], v[0:1]
	v_fma_f64 v[18:19], v[18:19], v[2:3], -v[0:1]
	ds_load_b128 v[0:3], v8 offset:50112
	s_wait_dscnt 0x0
	v_mul_f64_e32 v[20:21], v[88:89], v[2:3]
	s_delay_alu instid0(VALU_DEP_1) | instskip(SKIP_1) | instid1(VALU_DEP_1)
	v_fma_f64 v[22:23], v[86:87], v[0:1], v[20:21]
	v_mul_f64_e32 v[0:1], v[88:89], v[0:1]
	v_fma_f64 v[20:21], v[86:87], v[2:3], -v[0:1]
	v_add_f64_e32 v[86:87], v[98:99], v[106:107]
	ds_load_b128 v[0:3], v8
	s_wait_dscnt 0x0
	v_fma_f64 v[114:115], v[86:87], -0.5, v[0:1]
	v_add_f64_e32 v[86:87], v[100:101], v[108:109]
	v_add_f64_e32 v[0:1], v[0:1], v[98:99]
	s_delay_alu instid0(VALU_DEP_2) | instskip(SKIP_2) | instid1(VALU_DEP_4)
	v_fma_f64 v[116:117], v[86:87], -0.5, v[2:3]
	v_add_f64_e32 v[86:87], v[94:95], v[102:103]
	v_add_f64_e32 v[2:3], v[2:3], v[100:101]
	;; [unrolled: 1-line block ×3, first 2 shown]
	v_add_f64_e64 v[106:107], v[98:99], -v[106:107]
	s_delay_alu instid0(VALU_DEP_4) | instskip(SKIP_3) | instid1(VALU_DEP_3)
	v_add_f64_e32 v[90:91], v[86:87], v[110:111]
	v_add_f64_e32 v[86:87], v[96:97], v[104:105]
	;; [unrolled: 1-line block ×3, first 2 shown]
	v_add_f64_e64 v[108:109], v[100:101], -v[108:109]
	v_add_f64_e32 v[92:93], v[86:87], v[112:113]
	v_add_f64_e32 v[86:87], v[0:1], v[90:91]
	v_add_f64_e64 v[90:91], v[0:1], -v[90:91]
	v_add_f64_e32 v[0:1], v[102:103], v[110:111]
	s_delay_alu instid0(VALU_DEP_4)
	v_add_f64_e32 v[88:89], v[2:3], v[92:93]
	v_add_f64_e64 v[92:93], v[2:3], -v[92:93]
	v_add_f64_e64 v[2:3], v[102:103], -v[110:111]
	v_add_f64_e32 v[102:103], v[104:105], v[112:113]
	v_add_f64_e64 v[104:105], v[104:105], -v[112:113]
	v_fma_f64 v[0:1], v[0:1], -0.5, v[94:95]
	v_fma_f64 v[112:113], v[106:107], s[12:13], v[116:117]
	s_delay_alu instid0(VALU_DEP_4) | instskip(NEXT) | instid1(VALU_DEP_3)
	v_fma_f64 v[102:103], v[102:103], -0.5, v[96:97]
	v_fma_f64 v[98:99], v[104:105], s[14:15], v[0:1]
	v_fma_f64 v[0:1], v[104:105], s[12:13], v[0:1]
	s_delay_alu instid0(VALU_DEP_3) | instskip(SKIP_1) | instid1(VALU_DEP_2)
	v_fma_f64 v[94:95], v[2:3], s[12:13], v[102:103]
	v_fma_f64 v[2:3], v[2:3], s[14:15], v[102:103]
	v_mul_f64_e32 v[96:97], s[14:15], v[94:95]
	v_mul_f64_e32 v[94:95], 0.5, v[94:95]
	s_delay_alu instid0(VALU_DEP_3) | instskip(SKIP_1) | instid1(VALU_DEP_4)
	v_mul_f64_e32 v[102:103], s[14:15], v[2:3]
	v_mul_f64_e32 v[2:3], -0.5, v[2:3]
	v_fma_f64 v[100:101], v[98:99], 0.5, v[96:97]
	s_delay_alu instid0(VALU_DEP_4) | instskip(SKIP_2) | instid1(VALU_DEP_3)
	v_fma_f64 v[110:111], v[98:99], s[12:13], v[94:95]
	v_fma_f64 v[98:99], v[108:109], s[14:15], v[114:115]
	;; [unrolled: 1-line block ×3, first 2 shown]
	v_add_f64_e32 v[96:97], v[112:113], v[110:111]
	s_delay_alu instid0(VALU_DEP_3)
	v_add_f64_e32 v[94:95], v[98:99], v[100:101]
	v_add_f64_e64 v[98:99], v[98:99], -v[100:101]
	v_add_f64_e64 v[100:101], v[112:113], -v[110:111]
	v_fma_f64 v[110:111], v[106:107], s[14:15], v[116:117]
	v_fma_f64 v[106:107], v[0:1], -0.5, v[102:103]
	v_fma_f64 v[0:1], v[0:1], s[12:13], v[2:3]
	s_delay_alu instid0(VALU_DEP_2) | instskip(NEXT) | instid1(VALU_DEP_2)
	v_add_f64_e32 v[102:103], v[108:109], v[106:107]
	v_add_f64_e32 v[104:105], v[110:111], v[0:1]
	v_add_f64_e64 v[106:107], v[108:109], -v[106:107]
	v_add_f64_e64 v[108:109], v[110:111], -v[0:1]
	ds_load_b128 v[110:113], v8 offset:1728
	ds_load_b128 v[114:117], v8 offset:3456
	;; [unrolled: 1-line block ×4, first 2 shown]
	global_wb scope:SCOPE_SE
	s_wait_dscnt 0x0
	s_barrier_signal -1
	s_barrier_wait -1
	global_inv scope:SCOPE_SE
	scratch_load_b32 v9, off, off offset:1812 th:TH_LOAD_LU ; 4-byte Folded Reload
	s_wait_loadcnt 0x0
	ds_store_b128 v9, v[86:89]
	ds_store_b128 v9, v[90:93] offset:4320
	ds_store_b128 v9, v[94:97] offset:1440
	;; [unrolled: 1-line block ×5, first 2 shown]
	v_add_f64_e32 v[86:87], v[68:69], v[76:77]
	scratch_load_b32 v9, off, off offset:1792 th:TH_LOAD_LU ; 4-byte Folded Reload
	v_add_f64_e32 v[88:89], v[112:113], v[70:71]
	v_fma_f64 v[94:95], v[86:87], -0.5, v[110:111]
	v_add_f64_e32 v[86:87], v[70:71], v[78:79]
	s_delay_alu instid0(VALU_DEP_3) | instskip(SKIP_1) | instid1(VALU_DEP_3)
	v_add_f64_e32 v[92:93], v[88:89], v[78:79]
	v_add_f64_e64 v[78:79], v[70:71], -v[78:79]
	v_fma_f64 v[96:97], v[86:87], -0.5, v[112:113]
	v_add_f64_e32 v[86:87], v[110:111], v[68:69]
	s_delay_alu instid0(VALU_DEP_1) | instskip(SKIP_2) | instid1(VALU_DEP_2)
	v_add_f64_e32 v[90:91], v[86:87], v[76:77]
	v_add_f64_e32 v[86:87], v[64:65], v[74:75]
	v_add_f64_e64 v[76:77], v[68:69], -v[76:77]
	v_add_f64_e32 v[98:99], v[86:87], v[82:83]
	v_add_f64_e32 v[86:87], v[66:67], v[72:73]
	s_delay_alu instid0(VALU_DEP_1) | instskip(NEXT) | instid1(VALU_DEP_3)
	v_add_f64_e32 v[100:101], v[86:87], v[80:81]
	v_add_f64_e32 v[86:87], v[90:91], v[98:99]
	v_add_f64_e64 v[90:91], v[90:91], -v[98:99]
	v_add_f64_e32 v[98:99], v[74:75], v[82:83]
	v_add_f64_e64 v[74:75], v[74:75], -v[82:83]
	;; [unrolled: 2-line block ×4, first 2 shown]
	v_fma_f64 v[100:101], v[76:77], s[12:13], v[96:97]
	v_fma_f64 v[80:81], v[98:99], -0.5, v[64:65]
	v_fma_f64 v[82:83], v[82:83], -0.5, v[66:67]
	s_delay_alu instid0(VALU_DEP_2) | instskip(SKIP_1) | instid1(VALU_DEP_3)
	v_fma_f64 v[68:69], v[72:73], s[14:15], v[80:81]
	v_fma_f64 v[72:73], v[72:73], s[12:13], v[80:81]
	;; [unrolled: 1-line block ×5, first 2 shown]
	s_delay_alu instid0(VALU_DEP_3) | instskip(SKIP_1) | instid1(VALU_DEP_4)
	v_mul_f64_e32 v[66:67], s[14:15], v[64:65]
	v_mul_f64_e32 v[64:65], 0.5, v[64:65]
	v_mul_f64_e32 v[76:77], s[14:15], v[74:75]
	v_mul_f64_e32 v[74:75], -0.5, v[74:75]
	s_delay_alu instid0(VALU_DEP_4) | instskip(NEXT) | instid1(VALU_DEP_4)
	v_fma_f64 v[70:71], v[68:69], 0.5, v[66:67]
	v_fma_f64 v[98:99], v[68:69], s[12:13], v[64:65]
	v_fma_f64 v[68:69], v[78:79], s[14:15], v[94:95]
	;; [unrolled: 1-line block ×3, first 2 shown]
	v_fma_f64 v[76:77], v[72:73], -0.5, v[76:77]
	v_fma_f64 v[80:81], v[72:73], s[12:13], v[74:75]
	v_add_f64_e32 v[66:67], v[100:101], v[98:99]
	v_add_f64_e32 v[64:65], v[68:69], v[70:71]
	v_add_f64_e64 v[68:69], v[68:69], -v[70:71]
	v_add_f64_e32 v[72:73], v[78:79], v[76:77]
	v_add_f64_e32 v[74:75], v[82:83], v[80:81]
	v_add_f64_e64 v[70:71], v[100:101], -v[98:99]
	v_add_f64_e64 v[76:77], v[78:79], -v[76:77]
	;; [unrolled: 1-line block ×3, first 2 shown]
	s_wait_loadcnt 0x0
	ds_store_b128 v9, v[86:89]
	ds_store_b128 v9, v[64:67] offset:1440
	ds_store_b128 v9, v[72:75] offset:2880
	;; [unrolled: 1-line block ×5, first 2 shown]
	v_add_f64_e32 v[64:65], v[44:45], v[56:57]
	scratch_load_b32 v9, off, off offset:1756 th:TH_LOAD_LU ; 4-byte Folded Reload
	v_add_f64_e32 v[66:67], v[116:117], v[50:51]
	v_fma_f64 v[72:73], v[64:65], -0.5, v[114:115]
	v_add_f64_e32 v[64:65], v[50:51], v[58:59]
	s_delay_alu instid0(VALU_DEP_3) | instskip(SKIP_1) | instid1(VALU_DEP_3)
	v_add_f64_e32 v[70:71], v[66:67], v[58:59]
	v_add_f64_e64 v[58:59], v[50:51], -v[58:59]
	v_fma_f64 v[74:75], v[64:65], -0.5, v[116:117]
	v_add_f64_e32 v[64:65], v[114:115], v[44:45]
	v_add_f64_e64 v[44:45], v[44:45], -v[56:57]
	s_delay_alu instid0(VALU_DEP_2) | instskip(SKIP_2) | instid1(VALU_DEP_2)
	v_add_f64_e32 v[68:69], v[64:65], v[56:57]
	v_add_f64_e32 v[64:65], v[40:41], v[54:55]
	v_add_f64_e64 v[56:57], v[52:53], -v[60:61]
	v_add_f64_e32 v[76:77], v[64:65], v[62:63]
	v_add_f64_e32 v[64:65], v[42:43], v[52:53]
	s_delay_alu instid0(VALU_DEP_1) | instskip(NEXT) | instid1(VALU_DEP_3)
	v_add_f64_e32 v[78:79], v[64:65], v[60:61]
	v_add_f64_e32 v[64:65], v[68:69], v[76:77]
	v_add_f64_e64 v[68:69], v[68:69], -v[76:77]
	v_add_f64_e32 v[76:77], v[54:55], v[62:63]
	v_add_f64_e64 v[54:55], v[54:55], -v[62:63]
	v_add_f64_e32 v[62:63], v[52:53], v[60:61]
	v_add_f64_e32 v[66:67], v[70:71], v[78:79]
	v_add_f64_e64 v[70:71], v[70:71], -v[78:79]
	v_fma_f64 v[78:79], v[44:45], s[12:13], v[74:75]
	v_fma_f64 v[60:61], v[76:77], -0.5, v[40:41]
	v_fma_f64 v[44:45], v[44:45], s[14:15], v[74:75]
	v_fma_f64 v[62:63], v[62:63], -0.5, v[42:43]
	s_delay_alu instid0(VALU_DEP_3) | instskip(SKIP_1) | instid1(VALU_DEP_3)
	v_fma_f64 v[50:51], v[56:57], s[14:15], v[60:61]
	v_fma_f64 v[56:57], v[56:57], s[12:13], v[60:61]
	;; [unrolled: 1-line block ×4, first 2 shown]
	s_delay_alu instid0(VALU_DEP_2) | instskip(SKIP_1) | instid1(VALU_DEP_3)
	v_mul_f64_e32 v[42:43], s[14:15], v[40:41]
	v_mul_f64_e32 v[40:41], 0.5, v[40:41]
	v_mul_f64_e32 v[60:61], s[14:15], v[54:55]
	v_mul_f64_e32 v[54:55], -0.5, v[54:55]
	s_delay_alu instid0(VALU_DEP_4) | instskip(NEXT) | instid1(VALU_DEP_4)
	v_fma_f64 v[52:53], v[50:51], 0.5, v[42:43]
	v_fma_f64 v[76:77], v[50:51], s[12:13], v[40:41]
	v_fma_f64 v[50:51], v[58:59], s[14:15], v[72:73]
	;; [unrolled: 1-line block ×3, first 2 shown]
	v_fma_f64 v[60:61], v[56:57], -0.5, v[60:61]
	v_fma_f64 v[62:63], v[56:57], s[12:13], v[54:55]
	v_add_f64_e32 v[42:43], v[78:79], v[76:77]
	v_add_f64_e32 v[40:41], v[50:51], v[52:53]
	v_add_f64_e64 v[50:51], v[50:51], -v[52:53]
	v_add_f64_e32 v[54:55], v[58:59], v[60:61]
	v_add_f64_e32 v[56:57], v[44:45], v[62:63]
	v_add_f64_e64 v[52:53], v[78:79], -v[76:77]
	v_add_f64_e64 v[58:59], v[58:59], -v[60:61]
	;; [unrolled: 1-line block ×3, first 2 shown]
	s_wait_loadcnt 0x0
	ds_store_b128 v9, v[64:67]
	ds_store_b128 v9, v[40:43] offset:1440
	ds_store_b128 v9, v[54:57] offset:2880
	ds_store_b128 v9, v[68:71] offset:4320
	ds_store_b128 v9, v[50:53] offset:5760
	ds_store_b128 v9, v[58:61] offset:7200
	v_add_f64_e32 v[40:41], v[28:29], v[34:35]
	scratch_load_b32 v9, off, off offset:1672 th:TH_LOAD_LU ; 4-byte Folded Reload
	v_add_f64_e32 v[42:43], v[120:121], v[30:31]
	v_fma_f64 v[44:45], v[40:41], -0.5, v[118:119]
	v_add_f64_e32 v[40:41], v[30:31], v[36:37]
	s_delay_alu instid0(VALU_DEP_3) | instskip(SKIP_1) | instid1(VALU_DEP_3)
	v_add_f64_e32 v[52:53], v[42:43], v[36:37]
	v_add_f64_e64 v[36:37], v[30:31], -v[36:37]
	v_fma_f64 v[54:55], v[40:41], -0.5, v[120:121]
	v_add_f64_e32 v[40:41], v[118:119], v[28:29]
	s_delay_alu instid0(VALU_DEP_1) | instskip(SKIP_2) | instid1(VALU_DEP_2)
	v_add_f64_e32 v[50:51], v[40:41], v[34:35]
	v_add_f64_e32 v[40:41], v[24:25], v[46:47]
	v_add_f64_e64 v[34:35], v[28:29], -v[34:35]
	v_add_f64_e32 v[56:57], v[40:41], v[38:39]
	v_add_f64_e32 v[40:41], v[26:27], v[32:33]
	s_delay_alu instid0(VALU_DEP_1) | instskip(NEXT) | instid1(VALU_DEP_3)
	v_add_f64_e32 v[58:59], v[40:41], v[48:49]
	v_add_f64_e32 v[40:41], v[50:51], v[56:57]
	v_add_f64_e64 v[50:51], v[50:51], -v[56:57]
	v_add_f64_e32 v[56:57], v[46:47], v[38:39]
	v_add_f64_e64 v[38:39], v[46:47], -v[38:39]
	;; [unrolled: 2-line block ×4, first 2 shown]
	v_fma_f64 v[58:59], v[34:35], s[12:13], v[54:55]
	v_fma_f64 v[48:49], v[56:57], -0.5, v[24:25]
	v_fma_f64 v[46:47], v[46:47], -0.5, v[26:27]
	s_delay_alu instid0(VALU_DEP_2) | instskip(SKIP_1) | instid1(VALU_DEP_3)
	v_fma_f64 v[28:29], v[32:33], s[14:15], v[48:49]
	v_fma_f64 v[32:33], v[32:33], s[12:13], v[48:49]
	;; [unrolled: 1-line block ×4, first 2 shown]
	s_delay_alu instid0(VALU_DEP_2) | instskip(SKIP_1) | instid1(VALU_DEP_2)
	v_mul_f64_e32 v[26:27], s[14:15], v[24:25]
	v_mul_f64_e32 v[24:25], 0.5, v[24:25]
	v_fma_f64 v[30:31], v[28:29], 0.5, v[26:27]
	s_delay_alu instid0(VALU_DEP_2)
	v_fma_f64 v[56:57], v[28:29], s[12:13], v[24:25]
	v_fma_f64 v[28:29], v[36:37], s[14:15], v[44:45]
	v_fma_f64 v[36:37], v[36:37], s[12:13], v[44:45]
	v_fma_f64 v[44:45], v[34:35], s[14:15], v[54:55]
	v_mul_f64_e32 v[34:35], s[14:15], v[38:39]
	v_mul_f64_e32 v[38:39], -0.5, v[38:39]
	v_add_f64_e32 v[26:27], v[58:59], v[56:57]
	v_add_f64_e32 v[24:25], v[28:29], v[30:31]
	v_add_f64_e64 v[28:29], v[28:29], -v[30:31]
	v_add_f64_e64 v[30:31], v[58:59], -v[56:57]
	v_fma_f64 v[46:47], v[32:33], -0.5, v[34:35]
	v_fma_f64 v[38:39], v[32:33], s[12:13], v[38:39]
	s_delay_alu instid0(VALU_DEP_2) | instskip(NEXT) | instid1(VALU_DEP_2)
	v_add_f64_e32 v[32:33], v[36:37], v[46:47]
	v_add_f64_e32 v[34:35], v[44:45], v[38:39]
	v_add_f64_e64 v[36:37], v[36:37], -v[46:47]
	v_add_f64_e64 v[38:39], v[44:45], -v[38:39]
	s_wait_loadcnt 0x0
	ds_store_b128 v9, v[40:43]
	ds_store_b128 v9, v[24:27] offset:1440
	ds_store_b128 v9, v[32:35] offset:2880
	;; [unrolled: 1-line block ×5, first 2 shown]
	v_add_f64_e32 v[24:25], v[84:85], v[16:17]
	s_delay_alu instid0(VALU_DEP_1) | instskip(SKIP_2) | instid1(VALU_DEP_2)
	v_fma_f64 v[28:29], v[24:25], -0.5, v[0:1]
	v_add_f64_e32 v[24:25], v[10:11], v[18:19]
	v_add_f64_e32 v[0:1], v[0:1], v[84:85]
	v_fma_f64 v[30:31], v[24:25], -0.5, v[2:3]
	s_delay_alu instid0(VALU_DEP_2) | instskip(SKIP_3) | instid1(VALU_DEP_3)
	v_add_f64_e32 v[24:25], v[0:1], v[16:17]
	v_add_f64_e32 v[0:1], v[4:5], v[14:15]
	;; [unrolled: 1-line block ×3, first 2 shown]
	v_add_f64_e64 v[16:17], v[84:85], -v[16:17]
	v_add_f64_e32 v[32:33], v[0:1], v[22:23]
	v_add_f64_e32 v[0:1], v[6:7], v[12:13]
	s_delay_alu instid0(VALU_DEP_4) | instskip(SKIP_2) | instid1(VALU_DEP_4)
	v_add_f64_e32 v[26:27], v[2:3], v[18:19]
	v_add_f64_e64 v[18:19], v[10:11], -v[18:19]
	v_fma_f64 v[36:37], v[16:17], s[12:13], v[30:31]
	v_add_f64_e32 v[34:35], v[0:1], v[20:21]
	v_add_f64_e32 v[0:1], v[24:25], v[32:33]
	v_add_f64_e64 v[24:25], v[24:25], -v[32:33]
	v_add_f64_e32 v[32:33], v[14:15], v[22:23]
	v_add_f64_e64 v[14:15], v[14:15], -v[22:23]
	;; [unrolled: 2-line block ×4, first 2 shown]
	v_fma_f64 v[32:33], v[32:33], -0.5, v[4:5]
	v_fma_f64 v[22:23], v[22:23], -0.5, v[6:7]
	s_delay_alu instid0(VALU_DEP_2) | instskip(NEXT) | instid1(VALU_DEP_2)
	v_fma_f64 v[9:10], v[20:21], s[14:15], v[32:33]
	v_fma_f64 v[4:5], v[14:15], s[12:13], v[22:23]
	;; [unrolled: 1-line block ×5, first 2 shown]
	s_delay_alu instid0(VALU_DEP_4) | instskip(SKIP_3) | instid1(VALU_DEP_4)
	v_mul_f64_e32 v[6:7], s[14:15], v[4:5]
	v_mul_f64_e32 v[4:5], 0.5, v[4:5]
	v_mul_f64_e32 v[20:21], s[14:15], v[13:14]
	v_mul_f64_e32 v[13:14], -0.5, v[13:14]
	v_fma_f64 v[11:12], v[9:10], 0.5, v[6:7]
	s_delay_alu instid0(VALU_DEP_4)
	v_fma_f64 v[34:35], v[9:10], s[12:13], v[4:5]
	v_fma_f64 v[9:10], v[18:19], s[14:15], v[28:29]
	;; [unrolled: 1-line block ×3, first 2 shown]
	v_fma_f64 v[20:21], v[15:16], -0.5, v[20:21]
	v_fma_f64 v[28:29], v[15:16], s[12:13], v[13:14]
	v_add_f64_e32 v[6:7], v[36:37], v[34:35]
	v_add_f64_e32 v[4:5], v[9:10], v[11:12]
	v_add_f64_e64 v[9:10], v[9:10], -v[11:12]
	v_add_f64_e32 v[13:14], v[18:19], v[20:21]
	v_add_f64_e32 v[15:16], v[22:23], v[28:29]
	v_add_f64_e64 v[11:12], v[36:37], -v[34:35]
	v_add_f64_e64 v[17:18], v[18:19], -v[20:21]
	;; [unrolled: 1-line block ×3, first 2 shown]
	ds_store_b128 v163, v[0:3]
	ds_store_b128 v163, v[4:7] offset:1440
	ds_store_b128 v163, v[13:16] offset:2880
	;; [unrolled: 1-line block ×5, first 2 shown]
	global_wb scope:SCOPE_SE
	s_wait_dscnt 0x0
	s_barrier_signal -1
	s_barrier_wait -1
	global_inv scope:SCOPE_SE
	s_clause 0x1
	scratch_load_b128 v[9:12], off, off offset:1640 th:TH_LOAD_LU
	scratch_load_b128 v[106:109], off, off offset:1160 th:TH_LOAD_LU
	ds_load_b128 v[0:3], v8 offset:8640
	scratch_load_b128 v[88:91], off, off offset:1796 th:TH_LOAD_LU ; 16-byte Folded Reload
	s_wait_loadcnt_dscnt 0x200
	v_mul_f64_e32 v[4:5], v[11:12], v[2:3]
	s_delay_alu instid0(VALU_DEP_1) | instskip(SKIP_1) | instid1(VALU_DEP_1)
	v_fma_f64 v[92:93], v[9:10], v[0:1], v[4:5]
	v_mul_f64_e32 v[0:1], v[11:12], v[0:1]
	v_fma_f64 v[94:95], v[9:10], v[2:3], -v[0:1]
	scratch_load_b128 v[9:12], off, off offset:1624 th:TH_LOAD_LU ; 16-byte Folded Reload
	ds_load_b128 v[0:3], v8 offset:17280
	s_wait_loadcnt_dscnt 0x0
	v_mul_f64_e32 v[4:5], v[11:12], v[2:3]
	s_delay_alu instid0(VALU_DEP_1) | instskip(SKIP_1) | instid1(VALU_DEP_1)
	v_fma_f64 v[96:97], v[9:10], v[0:1], v[4:5]
	v_mul_f64_e32 v[0:1], v[11:12], v[0:1]
	v_fma_f64 v[78:79], v[9:10], v[2:3], -v[0:1]
	scratch_load_b128 v[9:12], off, off offset:1604 th:TH_LOAD_LU ; 16-byte Folded Reload
	ds_load_b128 v[0:3], v8 offset:25920
	;; [unrolled: 8-line block ×5, first 2 shown]
	s_wait_loadcnt_dscnt 0x0
	v_mul_f64_e32 v[4:5], v[11:12], v[2:3]
	s_delay_alu instid0(VALU_DEP_1)
	v_fma_f64 v[4:5], v[9:10], v[0:1], v[4:5]
	v_mul_f64_e32 v[0:1], v[11:12], v[0:1]
	scratch_load_b128 v[11:14], off, off offset:1692 th:TH_LOAD_LU ; 16-byte Folded Reload
	v_fma_f64 v[6:7], v[9:10], v[2:3], -v[0:1]
	ds_load_b128 v[0:3], v8 offset:19008
	s_wait_loadcnt_dscnt 0x0
	v_mul_f64_e32 v[9:10], v[13:14], v[2:3]
	s_delay_alu instid0(VALU_DEP_1) | instskip(SKIP_1) | instid1(VALU_DEP_1)
	v_fma_f64 v[72:73], v[11:12], v[0:1], v[9:10]
	v_mul_f64_e32 v[0:1], v[13:14], v[0:1]
	v_fma_f64 v[60:61], v[11:12], v[2:3], -v[0:1]
	scratch_load_b128 v[11:14], off, off offset:1676 th:TH_LOAD_LU ; 16-byte Folded Reload
	ds_load_b128 v[0:3], v8 offset:27648
	s_wait_loadcnt_dscnt 0x0
	v_mul_f64_e32 v[9:10], v[13:14], v[2:3]
	s_delay_alu instid0(VALU_DEP_1) | instskip(SKIP_1) | instid1(VALU_DEP_1)
	v_fma_f64 v[74:75], v[11:12], v[0:1], v[9:10]
	v_mul_f64_e32 v[0:1], v[13:14], v[0:1]
	v_fma_f64 v[62:63], v[11:12], v[2:3], -v[0:1]
	scratch_load_b128 v[11:14], off, off offset:1724 th:TH_LOAD_LU ; 16-byte Folded Reload
	ds_load_b128 v[0:3], v8 offset:36288
	s_wait_loadcnt_dscnt 0x0
	v_mul_f64_e32 v[9:10], v[13:14], v[2:3]
	s_delay_alu instid0(VALU_DEP_1) | instskip(SKIP_1) | instid1(VALU_DEP_2)
	v_fma_f64 v[64:65], v[11:12], v[0:1], v[9:10]
	v_mul_f64_e32 v[0:1], v[13:14], v[0:1]
	v_add_f64_e32 v[114:115], v[72:73], v[64:65]
	s_delay_alu instid0(VALU_DEP_2) | instskip(SKIP_4) | instid1(VALU_DEP_1)
	v_fma_f64 v[66:67], v[11:12], v[2:3], -v[0:1]
	scratch_load_b128 v[11:14], off, off offset:1740 th:TH_LOAD_LU ; 16-byte Folded Reload
	ds_load_b128 v[0:3], v8 offset:44928
	s_wait_loadcnt_dscnt 0x0
	v_mul_f64_e32 v[9:10], v[13:14], v[2:3]
	v_fma_f64 v[70:71], v[11:12], v[0:1], v[9:10]
	v_mul_f64_e32 v[0:1], v[13:14], v[0:1]
	s_delay_alu instid0(VALU_DEP_1) | instskip(SKIP_4) | instid1(VALU_DEP_1)
	v_fma_f64 v[68:69], v[11:12], v[2:3], -v[0:1]
	scratch_load_b128 v[12:15], off, off offset:1760 th:TH_LOAD_LU ; 16-byte Folded Reload
	ds_load_b128 v[0:3], v8 offset:12096
	s_wait_loadcnt_dscnt 0x0
	v_mul_f64_e32 v[9:10], v[14:15], v[2:3]
	v_fma_f64 v[10:11], v[12:13], v[0:1], v[9:10]
	v_mul_f64_e32 v[0:1], v[14:15], v[0:1]
	scratch_load_b128 v[14:17], off, off offset:1776 th:TH_LOAD_LU ; 16-byte Folded Reload
	v_fma_f64 v[56:57], v[12:13], v[2:3], -v[0:1]
	ds_load_b128 v[0:3], v8 offset:20736
	s_wait_dscnt 0x0
	v_mul_f64_e32 v[12:13], v[222:223], v[2:3]
	s_delay_alu instid0(VALU_DEP_1) | instskip(SKIP_1) | instid1(VALU_DEP_1)
	v_fma_f64 v[54:55], v[220:221], v[0:1], v[12:13]
	v_mul_f64_e32 v[0:1], v[222:223], v[0:1]
	v_fma_f64 v[38:39], v[220:221], v[2:3], -v[0:1]
	ds_load_b128 v[0:3], v8 offset:29376
	s_wait_dscnt 0x0
	v_mul_f64_e32 v[12:13], v[226:227], v[2:3]
	s_delay_alu instid0(VALU_DEP_1) | instskip(SKIP_1) | instid1(VALU_DEP_1)
	v_fma_f64 v[58:59], v[224:225], v[0:1], v[12:13]
	v_mul_f64_e32 v[0:1], v[226:227], v[0:1]
	v_fma_f64 v[40:41], v[224:225], v[2:3], -v[0:1]
	ds_load_b128 v[0:3], v8 offset:38016
	s_wait_dscnt 0x0
	v_mul_f64_e32 v[12:13], v[254:255], v[2:3]
	s_delay_alu instid0(VALU_DEP_1) | instskip(SKIP_1) | instid1(VALU_DEP_2)
	v_fma_f64 v[42:43], v[252:253], v[0:1], v[12:13]
	v_mul_f64_e32 v[0:1], v[254:255], v[0:1]
	v_add_f64_e32 v[122:123], v[54:55], v[42:43]
	s_delay_alu instid0(VALU_DEP_2) | instskip(SKIP_3) | instid1(VALU_DEP_1)
	v_fma_f64 v[44:45], v[252:253], v[2:3], -v[0:1]
	ds_load_b128 v[0:3], v8 offset:46656
	s_wait_loadcnt_dscnt 0x0
	v_mul_f64_e32 v[12:13], v[16:17], v[2:3]
	v_fma_f64 v[76:77], v[14:15], v[0:1], v[12:13]
	v_mul_f64_e32 v[0:1], v[16:17], v[0:1]
	s_delay_alu instid0(VALU_DEP_1) | instskip(SKIP_3) | instid1(VALU_DEP_1)
	v_fma_f64 v[48:49], v[14:15], v[2:3], -v[0:1]
	ds_load_b128 v[0:3], v8 offset:13824
	s_wait_dscnt 0x0
	v_mul_f64_e32 v[12:13], v[218:219], v[2:3]
	v_fma_f64 v[12:13], v[216:217], v[0:1], v[12:13]
	v_mul_f64_e32 v[0:1], v[218:219], v[0:1]
	s_delay_alu instid0(VALU_DEP_1) | instskip(SKIP_3) | instid1(VALU_DEP_1)
	v_fma_f64 v[36:37], v[216:217], v[2:3], -v[0:1]
	ds_load_b128 v[0:3], v8 offset:22464
	s_wait_dscnt 0x0
	;; [unrolled: 7-line block ×4, first 2 shown]
	v_mul_f64_e32 v[14:15], v[194:195], v[2:3]
	v_fma_f64 v[22:23], v[192:193], v[0:1], v[14:15]
	v_mul_f64_e32 v[0:1], v[194:195], v[0:1]
	s_delay_alu instid0(VALU_DEP_2) | instskip(NEXT) | instid1(VALU_DEP_2)
	v_add_f64_e32 v[130:131], v[34:35], v[22:23]
	v_fma_f64 v[28:29], v[192:193], v[2:3], -v[0:1]
	ds_load_b128 v[0:3], v8 offset:48384
	s_wait_dscnt 0x0
	v_mul_f64_e32 v[14:15], v[190:191], v[2:3]
	s_delay_alu instid0(VALU_DEP_1) | instskip(SKIP_1) | instid1(VALU_DEP_1)
	v_fma_f64 v[30:31], v[188:189], v[0:1], v[14:15]
	v_mul_f64_e32 v[0:1], v[190:191], v[0:1]
	v_fma_f64 v[24:25], v[188:189], v[2:3], -v[0:1]
	ds_load_b128 v[0:3], v8 offset:15552
	s_wait_dscnt 0x0
	v_mul_f64_e32 v[14:15], v[178:179], v[2:3]
	s_delay_alu instid0(VALU_DEP_1) | instskip(SKIP_1) | instid1(VALU_DEP_1)
	v_fma_f64 v[18:19], v[176:177], v[0:1], v[14:15]
	v_mul_f64_e32 v[0:1], v[178:179], v[0:1]
	;; [unrolled: 7-line block ×4, first 2 shown]
	v_fma_f64 v[32:33], v[88:89], v[2:3], -v[0:1]
	scratch_load_b128 v[88:91], off, off offset:1140 th:TH_LOAD_LU ; 16-byte Folded Reload
	ds_load_b128 v[0:3], v8 offset:41472
	s_wait_loadcnt_dscnt 0x0
	v_mul_f64_e32 v[52:53], v[90:91], v[2:3]
	s_delay_alu instid0(VALU_DEP_1) | instskip(SKIP_1) | instid1(VALU_DEP_2)
	v_fma_f64 v[52:53], v[88:89], v[0:1], v[52:53]
	v_mul_f64_e32 v[0:1], v[90:91], v[0:1]
	v_add_f64_e32 v[138:139], v[14:15], v[52:53]
	s_delay_alu instid0(VALU_DEP_2) | instskip(SKIP_3) | instid1(VALU_DEP_1)
	v_fma_f64 v[88:89], v[88:89], v[2:3], -v[0:1]
	ds_load_b128 v[0:3], v8 offset:50112
	s_wait_dscnt 0x0
	v_mul_f64_e32 v[90:91], v[108:109], v[2:3]
	v_fma_f64 v[102:103], v[106:107], v[0:1], v[90:91]
	v_mul_f64_e32 v[0:1], v[108:109], v[0:1]
	s_delay_alu instid0(VALU_DEP_1)
	v_fma_f64 v[90:91], v[106:107], v[2:3], -v[0:1]
	v_add_f64_e32 v[106:107], v[96:97], v[82:83]
	ds_load_b128 v[0:3], v8
	s_wait_dscnt 0x0
	v_fma_f64 v[142:143], v[106:107], -0.5, v[0:1]
	v_add_f64_e32 v[106:107], v[78:79], v[84:85]
	v_add_f64_e32 v[0:1], v[0:1], v[96:97]
	v_add_f64_e64 v[96:97], v[96:97], -v[82:83]
	s_delay_alu instid0(VALU_DEP_3) | instskip(SKIP_3) | instid1(VALU_DEP_3)
	v_fma_f64 v[144:145], v[106:107], -0.5, v[2:3]
	v_add_f64_e32 v[106:107], v[92:93], v[98:99]
	v_add_f64_e32 v[2:3], v[2:3], v[78:79]
	;; [unrolled: 1-line block ×5, first 2 shown]
	s_delay_alu instid0(VALU_DEP_4) | instskip(NEXT) | instid1(VALU_DEP_2)
	v_add_f64_e32 v[2:3], v[2:3], v[84:85]
	v_add_f64_e32 v[112:113], v[106:107], v[86:87]
	s_delay_alu instid0(VALU_DEP_4) | instskip(SKIP_1) | instid1(VALU_DEP_3)
	v_add_f64_e32 v[106:107], v[0:1], v[110:111]
	v_add_f64_e64 v[110:111], v[0:1], -v[110:111]
	v_add_f64_e32 v[108:109], v[2:3], v[112:113]
	v_add_f64_e64 v[112:113], v[2:3], -v[112:113]
	ds_load_b128 v[0:3], v8 offset:1728
	s_wait_dscnt 0x0
	v_fma_f64 v[146:147], v[114:115], -0.5, v[0:1]
	v_add_f64_e32 v[114:115], v[60:61], v[66:67]
	v_add_f64_e32 v[0:1], v[0:1], v[72:73]
	s_delay_alu instid0(VALU_DEP_2) | instskip(SKIP_2) | instid1(VALU_DEP_4)
	v_fma_f64 v[148:149], v[114:115], -0.5, v[2:3]
	v_add_f64_e32 v[114:115], v[4:5], v[74:75]
	v_add_f64_e32 v[2:3], v[2:3], v[60:61]
	;; [unrolled: 1-line block ×3, first 2 shown]
	v_add_f64_e64 v[64:65], v[72:73], -v[64:65]
	s_delay_alu instid0(VALU_DEP_4) | instskip(SKIP_3) | instid1(VALU_DEP_3)
	v_add_f64_e32 v[118:119], v[114:115], v[70:71]
	v_add_f64_e32 v[114:115], v[6:7], v[62:63]
	;; [unrolled: 1-line block ×3, first 2 shown]
	v_add_f64_e64 v[66:67], v[60:61], -v[66:67]
	v_add_f64_e32 v[120:121], v[114:115], v[68:69]
	v_add_f64_e32 v[114:115], v[0:1], v[118:119]
	v_add_f64_e64 v[0:1], v[0:1], -v[118:119]
	s_delay_alu instid0(VALU_DEP_3)
	v_add_f64_e32 v[116:117], v[2:3], v[120:121]
	v_add_f64_e64 v[2:3], v[2:3], -v[120:121]
	ds_load_b128 v[118:121], v8 offset:3456
	s_wait_dscnt 0x0
	v_fma_f64 v[150:151], v[122:123], -0.5, v[118:119]
	v_add_f64_e32 v[122:123], v[38:39], v[44:45]
	v_add_f64_e32 v[118:119], v[118:119], v[54:55]
	v_add_f64_e64 v[54:55], v[54:55], -v[42:43]
	s_delay_alu instid0(VALU_DEP_3) | instskip(NEXT) | instid1(VALU_DEP_3)
	v_fma_f64 v[152:153], v[122:123], -0.5, v[120:121]
	v_add_f64_e32 v[122:123], v[118:119], v[42:43]
	v_add_f64_e32 v[118:119], v[10:11], v[58:59]
	;; [unrolled: 1-line block ×3, first 2 shown]
	s_delay_alu instid0(VALU_DEP_2) | instskip(SKIP_1) | instid1(VALU_DEP_3)
	v_add_f64_e32 v[126:127], v[118:119], v[76:77]
	v_add_f64_e32 v[118:119], v[56:57], v[40:41]
	;; [unrolled: 1-line block ×3, first 2 shown]
	s_delay_alu instid0(VALU_DEP_2) | instskip(NEXT) | instid1(VALU_DEP_4)
	v_add_f64_e32 v[128:129], v[118:119], v[48:49]
	v_add_f64_e32 v[118:119], v[122:123], v[126:127]
	v_add_f64_e64 v[122:123], v[122:123], -v[126:127]
	s_delay_alu instid0(VALU_DEP_3)
	v_add_f64_e32 v[120:121], v[124:125], v[128:129]
	v_add_f64_e64 v[124:125], v[124:125], -v[128:129]
	ds_load_b128 v[126:129], v8 offset:5184
	s_wait_dscnt 0x0
	v_fma_f64 v[154:155], v[130:131], -0.5, v[126:127]
	v_add_f64_e32 v[130:131], v[16:17], v[28:29]
	v_add_f64_e32 v[126:127], v[126:127], v[34:35]
	s_delay_alu instid0(VALU_DEP_2) | instskip(NEXT) | instid1(VALU_DEP_2)
	v_fma_f64 v[156:157], v[130:131], -0.5, v[128:129]
	v_add_f64_e32 v[130:131], v[126:127], v[22:23]
	v_add_f64_e32 v[126:127], v[12:13], v[46:47]
	;; [unrolled: 1-line block ×3, first 2 shown]
	v_add_f64_e64 v[16:17], v[16:17], -v[28:29]
	s_delay_alu instid0(VALU_DEP_3) | instskip(SKIP_1) | instid1(VALU_DEP_4)
	v_add_f64_e32 v[134:135], v[126:127], v[30:31]
	v_add_f64_e32 v[126:127], v[36:37], v[20:21]
	;; [unrolled: 1-line block ×3, first 2 shown]
	v_add_f64_e64 v[28:29], v[34:35], -v[22:23]
	s_delay_alu instid0(VALU_DEP_3) | instskip(SKIP_2) | instid1(VALU_DEP_3)
	v_add_f64_e32 v[136:137], v[126:127], v[24:25]
	v_add_f64_e32 v[126:127], v[130:131], v[134:135]
	v_add_f64_e64 v[130:131], v[130:131], -v[134:135]
	v_add_f64_e32 v[128:129], v[132:133], v[136:137]
	v_add_f64_e64 v[132:133], v[132:133], -v[136:137]
	ds_load_b128 v[134:137], v8 offset:6912
	s_wait_dscnt 0x0
	v_fma_f64 v[158:159], v[138:139], -0.5, v[134:135]
	v_add_f64_e32 v[138:139], v[104:105], v[88:89]
	v_add_f64_e32 v[134:135], v[134:135], v[14:15]
	s_delay_alu instid0(VALU_DEP_2) | instskip(NEXT) | instid1(VALU_DEP_2)
	v_fma_f64 v[160:161], v[138:139], -0.5, v[136:137]
	v_add_f64_e32 v[138:139], v[134:135], v[52:53]
	v_add_f64_e32 v[134:135], v[18:19], v[50:51]
	;; [unrolled: 1-line block ×3, first 2 shown]
	v_add_f64_e64 v[52:53], v[14:15], -v[52:53]
	s_delay_alu instid0(VALU_DEP_3) | instskip(SKIP_1) | instid1(VALU_DEP_4)
	v_add_f64_e32 v[162:163], v[134:135], v[102:103]
	v_add_f64_e32 v[134:135], v[26:27], v[32:33]
	;; [unrolled: 1-line block ×3, first 2 shown]
	s_delay_alu instid0(VALU_DEP_2) | instskip(NEXT) | instid1(VALU_DEP_4)
	v_add_f64_e32 v[164:165], v[134:135], v[90:91]
	v_add_f64_e32 v[134:135], v[138:139], v[162:163]
	v_add_f64_e64 v[138:139], v[138:139], -v[162:163]
	v_add_f64_e32 v[162:163], v[98:99], v[100:101]
	v_add_f64_e64 v[98:99], v[98:99], -v[100:101]
	v_add_f64_e32 v[100:101], v[80:81], v[86:87]
	v_add_f64_e64 v[86:87], v[80:81], -v[86:87]
	v_add_f64_e32 v[136:137], v[140:141], v[164:165]
	v_add_f64_e64 v[140:141], v[140:141], -v[164:165]
	v_fma_f64 v[164:165], v[96:97], s[12:13], v[144:145]
	v_fma_f64 v[92:93], v[162:163], -0.5, v[92:93]
	v_fma_f64 v[94:95], v[100:101], -0.5, v[94:95]
	v_add_f64_e64 v[100:101], v[78:79], -v[84:85]
	s_delay_alu instid0(VALU_DEP_3) | instskip(SKIP_1) | instid1(VALU_DEP_4)
	v_fma_f64 v[82:83], v[86:87], s[14:15], v[92:93]
	v_fma_f64 v[86:87], v[86:87], s[12:13], v[92:93]
	;; [unrolled: 1-line block ×5, first 2 shown]
	s_delay_alu instid0(VALU_DEP_3) | instskip(SKIP_1) | instid1(VALU_DEP_4)
	v_mul_f64_e32 v[80:81], s[14:15], v[78:79]
	v_mul_f64_e32 v[78:79], 0.5, v[78:79]
	v_mul_f64_e32 v[92:93], s[14:15], v[94:95]
	v_mul_f64_e32 v[94:95], -0.5, v[94:95]
	s_delay_alu instid0(VALU_DEP_4) | instskip(NEXT) | instid1(VALU_DEP_4)
	v_fma_f64 v[84:85], v[82:83], 0.5, v[80:81]
	v_fma_f64 v[162:163], v[82:83], s[12:13], v[78:79]
	v_fma_f64 v[82:83], v[100:101], s[14:15], v[142:143]
	;; [unrolled: 1-line block ×3, first 2 shown]
	v_fma_f64 v[96:97], v[86:87], -0.5, v[92:93]
	v_fma_f64 v[86:87], v[86:87], s[12:13], v[94:95]
	v_add_f64_e32 v[80:81], v[164:165], v[162:163]
	v_add_f64_e32 v[78:79], v[82:83], v[84:85]
	v_add_f64_e64 v[82:83], v[82:83], -v[84:85]
	v_add_f64_e32 v[92:93], v[98:99], v[96:97]
	v_add_f64_e32 v[94:95], v[100:101], v[86:87]
	v_add_f64_e64 v[96:97], v[98:99], -v[96:97]
	v_add_f64_e64 v[98:99], v[100:101], -v[86:87]
	v_add_f64_e32 v[86:87], v[74:75], v[70:71]
	v_add_f64_e64 v[70:71], v[74:75], -v[70:71]
	v_add_f64_e32 v[74:75], v[62:63], v[68:69]
	v_add_f64_e64 v[68:69], v[62:63], -v[68:69]
	v_fma_f64 v[100:101], v[64:65], s[12:13], v[148:149]
	v_add_f64_e64 v[84:85], v[164:165], -v[162:163]
	v_fma_f64 v[72:73], v[86:87], -0.5, v[4:5]
	v_fma_f64 v[74:75], v[74:75], -0.5, v[6:7]
	s_delay_alu instid0(VALU_DEP_2) | instskip(NEXT) | instid1(VALU_DEP_2)
	v_fma_f64 v[60:61], v[68:69], s[14:15], v[72:73]
	v_fma_f64 v[4:5], v[70:71], s[12:13], v[74:75]
	;; [unrolled: 1-line block ×4, first 2 shown]
	s_delay_alu instid0(VALU_DEP_3) | instskip(SKIP_1) | instid1(VALU_DEP_2)
	v_mul_f64_e32 v[6:7], s[14:15], v[4:5]
	v_mul_f64_e32 v[4:5], 0.5, v[4:5]
	v_fma_f64 v[62:63], v[60:61], 0.5, v[6:7]
	s_delay_alu instid0(VALU_DEP_2) | instskip(SKIP_2) | instid1(VALU_DEP_3)
	v_fma_f64 v[86:87], v[60:61], s[12:13], v[4:5]
	v_fma_f64 v[60:61], v[66:67], s[14:15], v[146:147]
	v_mul_f64_e32 v[66:67], s[14:15], v[70:71]
	v_add_f64_e32 v[6:7], v[100:101], v[86:87]
	s_delay_alu instid0(VALU_DEP_3)
	v_add_f64_e32 v[4:5], v[60:61], v[62:63]
	v_add_f64_e64 v[60:61], v[60:61], -v[62:63]
	v_add_f64_e64 v[62:63], v[100:101], -v[86:87]
	v_fma_f64 v[86:87], v[64:65], s[14:15], v[148:149]
	v_fma_f64 v[64:65], v[68:69], s[12:13], v[72:73]
	v_mul_f64_e32 v[68:69], -0.5, v[70:71]
	s_delay_alu instid0(VALU_DEP_2) | instskip(NEXT) | instid1(VALU_DEP_2)
	v_fma_f64 v[70:71], v[64:65], -0.5, v[66:67]
	v_fma_f64 v[72:73], v[64:65], s[12:13], v[68:69]
	s_delay_alu instid0(VALU_DEP_2) | instskip(SKIP_2) | instid1(VALU_DEP_4)
	v_add_f64_e32 v[64:65], v[74:75], v[70:71]
	v_add_f64_e64 v[68:69], v[74:75], -v[70:71]
	v_add_f64_e32 v[74:75], v[40:41], v[48:49]
	v_add_f64_e32 v[66:67], v[86:87], v[72:73]
	v_add_f64_e64 v[70:71], v[86:87], -v[72:73]
	v_add_f64_e32 v[72:73], v[58:59], v[76:77]
	v_add_f64_e64 v[58:59], v[58:59], -v[76:77]
	v_add_f64_e64 v[48:49], v[40:41], -v[48:49]
	v_fma_f64 v[76:77], v[54:55], s[12:13], v[152:153]
	v_fma_f64 v[56:57], v[74:75], -0.5, v[56:57]
	v_add_f64_e64 v[74:75], v[38:39], -v[44:45]
	v_fma_f64 v[9:10], v[72:73], -0.5, v[10:11]
	s_delay_alu instid0(VALU_DEP_3) | instskip(SKIP_1) | instid1(VALU_DEP_4)
	v_fma_f64 v[38:39], v[58:59], s[12:13], v[56:57]
	v_fma_f64 v[56:57], v[58:59], s[14:15], v[56:57]
	;; [unrolled: 1-line block ×3, first 2 shown]
	s_delay_alu instid0(VALU_DEP_4) | instskip(SKIP_4) | instid1(VALU_DEP_3)
	v_fma_f64 v[42:43], v[48:49], s[14:15], v[9:10]
	v_fma_f64 v[9:10], v[48:49], s[12:13], v[9:10]
	v_mul_f64_e32 v[40:41], s[14:15], v[38:39]
	v_mul_f64_e32 v[38:39], 0.5, v[38:39]
	v_mul_f64_e32 v[48:49], s[14:15], v[56:57]
	v_fma_f64 v[44:45], v[42:43], 0.5, v[40:41]
	s_delay_alu instid0(VALU_DEP_3)
	v_fma_f64 v[72:73], v[42:43], s[12:13], v[38:39]
	v_fma_f64 v[42:43], v[74:75], s[14:15], v[150:151]
	;; [unrolled: 1-line block ×3, first 2 shown]
	v_mul_f64_e32 v[54:55], -0.5, v[56:57]
	v_fma_f64 v[48:49], v[9:10], -0.5, v[48:49]
	v_add_f64_e32 v[40:41], v[76:77], v[72:73]
	v_add_f64_e32 v[38:39], v[42:43], v[44:45]
	v_add_f64_e64 v[42:43], v[42:43], -v[44:45]
	v_fma_f64 v[9:10], v[9:10], s[12:13], v[54:55]
	v_add_f64_e64 v[44:45], v[76:77], -v[72:73]
	v_add_f64_e32 v[54:55], v[58:59], v[48:49]
	v_add_f64_e64 v[72:73], v[58:59], -v[48:49]
	v_fma_f64 v[48:49], v[28:29], s[12:13], v[156:157]
	v_fma_f64 v[76:77], v[52:53], s[12:13], v[160:161]
	v_add_f64_e32 v[56:57], v[74:75], v[9:10]
	v_add_f64_e64 v[74:75], v[74:75], -v[9:10]
	v_add_f64_e32 v[9:10], v[46:47], v[30:31]
	v_add_f64_e64 v[30:31], v[46:47], -v[30:31]
	;; [unrolled: 2-line block ×3, first 2 shown]
	s_delay_alu instid0(VALU_DEP_4) | instskip(NEXT) | instid1(VALU_DEP_3)
	v_fma_f64 v[34:35], v[9:10], -0.5, v[12:13]
	v_fma_f64 v[36:37], v[46:47], -0.5, v[36:37]
	s_delay_alu instid0(VALU_DEP_2) | instskip(SKIP_1) | instid1(VALU_DEP_3)
	v_fma_f64 v[20:21], v[24:25], s[14:15], v[34:35]
	v_fma_f64 v[24:25], v[24:25], s[12:13], v[34:35]
	;; [unrolled: 1-line block ×5, first 2 shown]
	s_delay_alu instid0(VALU_DEP_3) | instskip(NEXT) | instid1(VALU_DEP_3)
	v_mul_f64_e32 v[11:12], s[14:15], v[9:10]
	v_mul_f64_e32 v[28:29], s[14:15], v[30:31]
	v_mul_f64_e32 v[30:31], -0.5, v[30:31]
	v_mul_f64_e32 v[9:10], 0.5, v[9:10]
	s_delay_alu instid0(VALU_DEP_4) | instskip(NEXT) | instid1(VALU_DEP_4)
	v_fma_f64 v[22:23], v[20:21], 0.5, v[11:12]
	v_fma_f64 v[34:35], v[24:25], -0.5, v[28:29]
	s_delay_alu instid0(VALU_DEP_4) | instskip(NEXT) | instid1(VALU_DEP_4)
	v_fma_f64 v[24:25], v[24:25], s[12:13], v[30:31]
	v_fma_f64 v[46:47], v[20:21], s[12:13], v[9:10]
	;; [unrolled: 1-line block ×4, first 2 shown]
	s_delay_alu instid0(VALU_DEP_4)
	v_add_f64_e32 v[30:31], v[36:37], v[24:25]
	v_add_f64_e64 v[36:37], v[36:37], -v[24:25]
	v_add_f64_e32 v[24:25], v[32:33], v[90:91]
	v_add_f64_e32 v[9:10], v[20:21], v[22:23]
	;; [unrolled: 1-line block ×3, first 2 shown]
	v_add_f64_e64 v[20:21], v[20:21], -v[22:23]
	v_add_f64_e64 v[22:23], v[48:49], -v[46:47]
	v_add_f64_e32 v[28:29], v[16:17], v[34:35]
	v_add_f64_e64 v[34:35], v[16:17], -v[34:35]
	v_add_f64_e32 v[16:17], v[50:51], v[102:103]
	v_add_f64_e64 v[46:47], v[50:51], -v[102:103]
	v_add_f64_e64 v[32:33], v[32:33], -v[90:91]
	v_add_f64_e64 v[50:51], v[104:105], -v[88:89]
	v_fma_f64 v[48:49], v[24:25], -0.5, v[26:27]
	v_fma_f64 v[17:18], v[16:17], -0.5, v[18:19]
	s_delay_alu instid0(VALU_DEP_2) | instskip(SKIP_1) | instid1(VALU_DEP_3)
	v_fma_f64 v[13:14], v[46:47], s[12:13], v[48:49]
	v_fma_f64 v[46:47], v[46:47], s[14:15], v[48:49]
	;; [unrolled: 1-line block ×5, first 2 shown]
	v_mul_f64_e32 v[15:16], s[14:15], v[13:14]
	v_mul_f64_e32 v[13:14], 0.5, v[13:14]
	v_mul_f64_e32 v[48:49], s[14:15], v[46:47]
	v_mul_f64_e32 v[46:47], -0.5, v[46:47]
	s_delay_alu instid0(VALU_DEP_4) | instskip(NEXT) | instid1(VALU_DEP_4)
	v_fma_f64 v[26:27], v[24:25], 0.5, v[15:16]
	v_fma_f64 v[58:59], v[24:25], s[12:13], v[13:14]
	v_fma_f64 v[24:25], v[50:51], s[14:15], v[158:159]
	;; [unrolled: 1-line block ×3, first 2 shown]
	v_fma_f64 v[52:53], v[17:18], -0.5, v[48:49]
	v_fma_f64 v[17:18], v[17:18], s[12:13], v[46:47]
	v_add_f64_e32 v[15:16], v[76:77], v[58:59]
	v_add_f64_e32 v[13:14], v[24:25], v[26:27]
	v_add_f64_e64 v[24:25], v[24:25], -v[26:27]
	v_add_f64_e32 v[46:47], v[50:51], v[52:53]
	v_add_f64_e32 v[48:49], v[32:33], v[17:18]
	v_add_f64_e64 v[26:27], v[76:77], -v[58:59]
	v_add_f64_e64 v[50:51], v[50:51], -v[52:53]
	;; [unrolled: 1-line block ×3, first 2 shown]
	ds_store_b128 v8, v[106:109]
	ds_store_b128 v8, v[110:113] offset:25920
	ds_store_b128 v8, v[114:117] offset:1728
	;; [unrolled: 1-line block ×29, first 2 shown]
	global_wb scope:SCOPE_SE
	s_wait_dscnt 0x0
	s_barrier_signal -1
	s_barrier_wait -1
	global_inv scope:SCOPE_SE
	s_clause 0x1
	scratch_load_b128 v[9:12], off, off offset:200 th:TH_LOAD_LU
	scratch_load_b128 v[55:58], off, off offset:184 th:TH_LOAD_LU
	ds_load_b128 v[0:3], v8
	s_clause 0x1a
	scratch_load_b128 v[15:18], off, off offset:104 th:TH_LOAD_LU
	scratch_load_b128 v[43:46], off, off offset:136 th:TH_LOAD_LU
	;; [unrolled: 1-line block ×27, first 2 shown]
	s_wait_loadcnt_dscnt 0x1c00
	v_mul_f64_e32 v[4:5], v[11:12], v[2:3]
	s_delay_alu instid0(VALU_DEP_1)
	v_fma_f64 v[4:5], v[9:10], v[0:1], v[4:5]
	v_mul_f64_e32 v[0:1], v[11:12], v[0:1]
	scratch_load_b128 v[11:14], off, off offset:120 th:TH_LOAD_LU ; 16-byte Folded Reload
	v_fma_f64 v[6:7], v[9:10], v[2:3], -v[0:1]
	ds_load_b128 v[0:3], v8 offset:17280
	s_wait_loadcnt_dscnt 0x0
	v_mul_f64_e32 v[9:10], v[13:14], v[2:3]
	s_delay_alu instid0(VALU_DEP_1) | instskip(SKIP_1) | instid1(VALU_DEP_1)
	v_fma_f64 v[9:10], v[11:12], v[0:1], v[9:10]
	v_mul_f64_e32 v[0:1], v[13:14], v[0:1]
	v_fma_f64 v[11:12], v[11:12], v[2:3], -v[0:1]
	ds_load_b128 v[0:3], v8 offset:34560
	s_wait_dscnt 0x0
	v_mul_f64_e32 v[13:14], v[17:18], v[2:3]
	s_delay_alu instid0(VALU_DEP_1) | instskip(SKIP_1) | instid1(VALU_DEP_1)
	v_fma_f64 v[13:14], v[15:16], v[0:1], v[13:14]
	v_mul_f64_e32 v[0:1], v[17:18], v[0:1]
	v_fma_f64 v[15:16], v[15:16], v[2:3], -v[0:1]
	ds_load_b128 v[0:3], v8 offset:1728
	s_wait_dscnt 0x0
	v_mul_f64_e32 v[17:18], v[21:22], v[2:3]
	s_delay_alu instid0(VALU_DEP_1) | instskip(SKIP_1) | instid1(VALU_DEP_1)
	v_fma_f64 v[17:18], v[19:20], v[0:1], v[17:18]
	v_mul_f64_e32 v[0:1], v[21:22], v[0:1]
	v_fma_f64 v[19:20], v[19:20], v[2:3], -v[0:1]
	ds_load_b128 v[0:3], v8 offset:19008
	s_wait_dscnt 0x0
	v_mul_f64_e32 v[21:22], v[25:26], v[2:3]
	s_delay_alu instid0(VALU_DEP_1) | instskip(SKIP_1) | instid1(VALU_DEP_1)
	v_fma_f64 v[21:22], v[23:24], v[0:1], v[21:22]
	v_mul_f64_e32 v[0:1], v[25:26], v[0:1]
	v_fma_f64 v[23:24], v[23:24], v[2:3], -v[0:1]
	ds_load_b128 v[0:3], v8 offset:36288
	s_wait_dscnt 0x0
	v_mul_f64_e32 v[25:26], v[29:30], v[2:3]
	s_delay_alu instid0(VALU_DEP_1) | instskip(SKIP_1) | instid1(VALU_DEP_1)
	v_fma_f64 v[25:26], v[27:28], v[0:1], v[25:26]
	v_mul_f64_e32 v[0:1], v[29:30], v[0:1]
	v_fma_f64 v[27:28], v[27:28], v[2:3], -v[0:1]
	ds_load_b128 v[0:3], v8 offset:3456
	s_wait_dscnt 0x0
	v_mul_f64_e32 v[29:30], v[33:34], v[2:3]
	s_delay_alu instid0(VALU_DEP_1) | instskip(SKIP_1) | instid1(VALU_DEP_1)
	v_fma_f64 v[29:30], v[31:32], v[0:1], v[29:30]
	v_mul_f64_e32 v[0:1], v[33:34], v[0:1]
	v_fma_f64 v[31:32], v[31:32], v[2:3], -v[0:1]
	ds_load_b128 v[0:3], v8 offset:20736
	s_wait_dscnt 0x0
	v_mul_f64_e32 v[33:34], v[37:38], v[2:3]
	s_delay_alu instid0(VALU_DEP_1) | instskip(SKIP_1) | instid1(VALU_DEP_1)
	v_fma_f64 v[33:34], v[35:36], v[0:1], v[33:34]
	v_mul_f64_e32 v[0:1], v[37:38], v[0:1]
	v_fma_f64 v[35:36], v[35:36], v[2:3], -v[0:1]
	ds_load_b128 v[0:3], v8 offset:38016
	s_wait_dscnt 0x0
	v_mul_f64_e32 v[37:38], v[41:42], v[2:3]
	s_delay_alu instid0(VALU_DEP_1) | instskip(SKIP_1) | instid1(VALU_DEP_1)
	v_fma_f64 v[37:38], v[39:40], v[0:1], v[37:38]
	v_mul_f64_e32 v[0:1], v[41:42], v[0:1]
	v_fma_f64 v[39:40], v[39:40], v[2:3], -v[0:1]
	ds_load_b128 v[0:3], v8 offset:5184
	s_wait_dscnt 0x0
	v_mul_f64_e32 v[41:42], v[45:46], v[2:3]
	s_delay_alu instid0(VALU_DEP_1) | instskip(SKIP_1) | instid1(VALU_DEP_1)
	v_fma_f64 v[41:42], v[43:44], v[0:1], v[41:42]
	v_mul_f64_e32 v[0:1], v[45:46], v[0:1]
	v_fma_f64 v[43:44], v[43:44], v[2:3], -v[0:1]
	ds_load_b128 v[0:3], v8 offset:22464
	s_wait_dscnt 0x0
	v_mul_f64_e32 v[45:46], v[49:50], v[2:3]
	s_delay_alu instid0(VALU_DEP_1) | instskip(SKIP_1) | instid1(VALU_DEP_1)
	v_fma_f64 v[45:46], v[47:48], v[0:1], v[45:46]
	v_mul_f64_e32 v[0:1], v[49:50], v[0:1]
	v_fma_f64 v[47:48], v[47:48], v[2:3], -v[0:1]
	ds_load_b128 v[0:3], v8 offset:39744
	s_wait_dscnt 0x0
	v_mul_f64_e32 v[49:50], v[53:54], v[2:3]
	s_delay_alu instid0(VALU_DEP_1) | instskip(SKIP_1) | instid1(VALU_DEP_1)
	v_fma_f64 v[49:50], v[51:52], v[0:1], v[49:50]
	v_mul_f64_e32 v[0:1], v[53:54], v[0:1]
	v_fma_f64 v[51:52], v[51:52], v[2:3], -v[0:1]
	ds_load_b128 v[0:3], v8 offset:6912
	s_wait_dscnt 0x0
	v_mul_f64_e32 v[53:54], v[57:58], v[2:3]
	s_delay_alu instid0(VALU_DEP_1) | instskip(SKIP_1) | instid1(VALU_DEP_1)
	v_fma_f64 v[53:54], v[55:56], v[0:1], v[53:54]
	v_mul_f64_e32 v[0:1], v[57:58], v[0:1]
	v_fma_f64 v[55:56], v[55:56], v[2:3], -v[0:1]
	ds_load_b128 v[0:3], v8 offset:24192
	s_wait_dscnt 0x0
	v_mul_f64_e32 v[57:58], v[61:62], v[2:3]
	s_delay_alu instid0(VALU_DEP_1) | instskip(SKIP_1) | instid1(VALU_DEP_1)
	v_fma_f64 v[57:58], v[59:60], v[0:1], v[57:58]
	v_mul_f64_e32 v[0:1], v[61:62], v[0:1]
	v_fma_f64 v[59:60], v[59:60], v[2:3], -v[0:1]
	ds_load_b128 v[0:3], v8 offset:41472
	s_wait_dscnt 0x0
	v_mul_f64_e32 v[61:62], v[65:66], v[2:3]
	s_delay_alu instid0(VALU_DEP_1) | instskip(SKIP_1) | instid1(VALU_DEP_1)
	v_fma_f64 v[61:62], v[63:64], v[0:1], v[61:62]
	v_mul_f64_e32 v[0:1], v[65:66], v[0:1]
	v_fma_f64 v[63:64], v[63:64], v[2:3], -v[0:1]
	ds_load_b128 v[0:3], v8 offset:8640
	s_wait_dscnt 0x0
	v_mul_f64_e32 v[65:66], v[69:70], v[2:3]
	s_delay_alu instid0(VALU_DEP_1) | instskip(SKIP_1) | instid1(VALU_DEP_1)
	v_fma_f64 v[65:66], v[67:68], v[0:1], v[65:66]
	v_mul_f64_e32 v[0:1], v[69:70], v[0:1]
	v_fma_f64 v[67:68], v[67:68], v[2:3], -v[0:1]
	ds_load_b128 v[0:3], v8 offset:25920
	s_wait_dscnt 0x0
	v_mul_f64_e32 v[69:70], v[73:74], v[2:3]
	s_delay_alu instid0(VALU_DEP_1) | instskip(SKIP_1) | instid1(VALU_DEP_1)
	v_fma_f64 v[69:70], v[71:72], v[0:1], v[69:70]
	v_mul_f64_e32 v[0:1], v[73:74], v[0:1]
	v_fma_f64 v[71:72], v[71:72], v[2:3], -v[0:1]
	ds_load_b128 v[0:3], v8 offset:43200
	s_wait_dscnt 0x0
	v_mul_f64_e32 v[73:74], v[77:78], v[2:3]
	s_delay_alu instid0(VALU_DEP_1) | instskip(SKIP_1) | instid1(VALU_DEP_1)
	v_fma_f64 v[73:74], v[75:76], v[0:1], v[73:74]
	v_mul_f64_e32 v[0:1], v[77:78], v[0:1]
	v_fma_f64 v[75:76], v[75:76], v[2:3], -v[0:1]
	ds_load_b128 v[0:3], v8 offset:10368
	s_wait_dscnt 0x0
	v_mul_f64_e32 v[77:78], v[81:82], v[2:3]
	s_delay_alu instid0(VALU_DEP_1) | instskip(SKIP_1) | instid1(VALU_DEP_1)
	v_fma_f64 v[77:78], v[79:80], v[0:1], v[77:78]
	v_mul_f64_e32 v[0:1], v[81:82], v[0:1]
	v_fma_f64 v[79:80], v[79:80], v[2:3], -v[0:1]
	ds_load_b128 v[0:3], v8 offset:27648
	s_wait_dscnt 0x0
	v_mul_f64_e32 v[81:82], v[85:86], v[2:3]
	s_delay_alu instid0(VALU_DEP_1) | instskip(SKIP_1) | instid1(VALU_DEP_1)
	v_fma_f64 v[81:82], v[83:84], v[0:1], v[81:82]
	v_mul_f64_e32 v[0:1], v[85:86], v[0:1]
	v_fma_f64 v[83:84], v[83:84], v[2:3], -v[0:1]
	ds_load_b128 v[0:3], v8 offset:44928
	s_wait_dscnt 0x0
	v_mul_f64_e32 v[85:86], v[89:90], v[2:3]
	s_delay_alu instid0(VALU_DEP_1) | instskip(SKIP_1) | instid1(VALU_DEP_1)
	v_fma_f64 v[85:86], v[87:88], v[0:1], v[85:86]
	v_mul_f64_e32 v[0:1], v[89:90], v[0:1]
	v_fma_f64 v[87:88], v[87:88], v[2:3], -v[0:1]
	ds_load_b128 v[0:3], v8 offset:12096
	s_wait_dscnt 0x0
	v_mul_f64_e32 v[89:90], v[93:94], v[2:3]
	s_delay_alu instid0(VALU_DEP_1) | instskip(SKIP_1) | instid1(VALU_DEP_1)
	v_fma_f64 v[89:90], v[91:92], v[0:1], v[89:90]
	v_mul_f64_e32 v[0:1], v[93:94], v[0:1]
	v_fma_f64 v[91:92], v[91:92], v[2:3], -v[0:1]
	ds_load_b128 v[0:3], v8 offset:29376
	s_wait_dscnt 0x0
	v_mul_f64_e32 v[93:94], v[97:98], v[2:3]
	s_delay_alu instid0(VALU_DEP_1) | instskip(SKIP_1) | instid1(VALU_DEP_1)
	v_fma_f64 v[93:94], v[95:96], v[0:1], v[93:94]
	v_mul_f64_e32 v[0:1], v[97:98], v[0:1]
	v_fma_f64 v[95:96], v[95:96], v[2:3], -v[0:1]
	ds_load_b128 v[0:3], v8 offset:46656
	s_wait_dscnt 0x0
	v_mul_f64_e32 v[97:98], v[101:102], v[2:3]
	s_delay_alu instid0(VALU_DEP_1) | instskip(SKIP_1) | instid1(VALU_DEP_1)
	v_fma_f64 v[97:98], v[99:100], v[0:1], v[97:98]
	v_mul_f64_e32 v[0:1], v[101:102], v[0:1]
	v_fma_f64 v[99:100], v[99:100], v[2:3], -v[0:1]
	ds_load_b128 v[0:3], v8 offset:13824
	s_wait_dscnt 0x0
	v_mul_f64_e32 v[101:102], v[105:106], v[2:3]
	s_delay_alu instid0(VALU_DEP_1) | instskip(SKIP_1) | instid1(VALU_DEP_1)
	v_fma_f64 v[101:102], v[103:104], v[0:1], v[101:102]
	v_mul_f64_e32 v[0:1], v[105:106], v[0:1]
	v_fma_f64 v[103:104], v[103:104], v[2:3], -v[0:1]
	ds_load_b128 v[0:3], v8 offset:31104
	s_wait_dscnt 0x0
	v_mul_f64_e32 v[105:106], v[109:110], v[2:3]
	s_delay_alu instid0(VALU_DEP_1) | instskip(SKIP_1) | instid1(VALU_DEP_1)
	v_fma_f64 v[105:106], v[107:108], v[0:1], v[105:106]
	v_mul_f64_e32 v[0:1], v[109:110], v[0:1]
	v_fma_f64 v[107:108], v[107:108], v[2:3], -v[0:1]
	ds_load_b128 v[0:3], v8 offset:48384
	s_wait_dscnt 0x0
	v_mul_f64_e32 v[109:110], v[113:114], v[2:3]
	s_delay_alu instid0(VALU_DEP_1) | instskip(SKIP_1) | instid1(VALU_DEP_1)
	v_fma_f64 v[109:110], v[111:112], v[0:1], v[109:110]
	v_mul_f64_e32 v[0:1], v[113:114], v[0:1]
	v_fma_f64 v[111:112], v[111:112], v[2:3], -v[0:1]
	ds_load_b128 v[0:3], v8 offset:15552
	s_wait_dscnt 0x0
	v_mul_f64_e32 v[113:114], v[117:118], v[2:3]
	s_delay_alu instid0(VALU_DEP_1) | instskip(SKIP_1) | instid1(VALU_DEP_1)
	v_fma_f64 v[113:114], v[115:116], v[0:1], v[113:114]
	v_mul_f64_e32 v[0:1], v[117:118], v[0:1]
	v_fma_f64 v[115:116], v[115:116], v[2:3], -v[0:1]
	ds_load_b128 v[0:3], v8 offset:32832
	s_wait_dscnt 0x0
	v_mul_f64_e32 v[117:118], v[121:122], v[2:3]
	s_delay_alu instid0(VALU_DEP_1) | instskip(SKIP_1) | instid1(VALU_DEP_1)
	v_fma_f64 v[117:118], v[119:120], v[0:1], v[117:118]
	v_mul_f64_e32 v[0:1], v[121:122], v[0:1]
	v_fma_f64 v[119:120], v[119:120], v[2:3], -v[0:1]
	ds_load_b128 v[0:3], v8 offset:50112
	scratch_load_b32 v8, off, off offset:488 th:TH_LOAD_LU ; 4-byte Folded Reload
	s_wait_dscnt 0x0
	v_mul_f64_e32 v[121:122], v[125:126], v[2:3]
	s_delay_alu instid0(VALU_DEP_1) | instskip(SKIP_1) | instid1(VALU_DEP_1)
	v_fma_f64 v[121:122], v[123:124], v[0:1], v[121:122]
	v_mul_f64_e32 v[0:1], v[125:126], v[0:1]
	v_fma_f64 v[123:124], v[123:124], v[2:3], -v[0:1]
	scratch_load_b64 v[2:3], off, off th:TH_LOAD_LU ; 8-byte Folded Reload
	s_wait_loadcnt 0x0
	v_mad_co_u64_u32 v[0:1], null, s6, v2, 0
	s_delay_alu instid0(VALU_DEP_1) | instskip(SKIP_2) | instid1(VALU_DEP_2)
	v_mad_co_u64_u32 v[1:2], null, s7, v2, v[1:2]
	v_mad_co_u64_u32 v[2:3], null, s4, v8, 0
	s_mul_u64 s[6:7], s[4:5], 0x4380
	v_lshlrev_b64_e32 v[0:1], 4, v[0:1]
	s_delay_alu instid0(VALU_DEP_2) | instskip(NEXT) | instid1(VALU_DEP_2)
	v_mad_co_u64_u32 v[125:126], null, s5, v8, v[3:4]
	v_add_co_u32 v8, vcc_lo, s0, v0
	s_wait_alu 0xfffd
	s_delay_alu instid0(VALU_DEP_3) | instskip(NEXT) | instid1(VALU_DEP_3)
	v_add_co_ci_u32_e32 v126, vcc_lo, s1, v1, vcc_lo
	v_mov_b32_e32 v3, v125
	s_mov_b32 s0, 0x30abee4d
	s_mov_b32 s1, 0x3f343a27
	s_delay_alu instid0(VALU_DEP_1) | instskip(SKIP_3) | instid1(VALU_DEP_3)
	v_lshlrev_b64_e32 v[0:1], 4, v[2:3]
	s_wait_alu 0xfffe
	v_mul_f64_e32 v[2:3], s[0:1], v[6:7]
	v_mul_f64_e32 v[6:7], s[0:1], v[27:28]
	v_add_co_u32 v125, vcc_lo, v8, v0
	s_wait_alu 0xfffd
	v_add_co_ci_u32_e32 v126, vcc_lo, v126, v1, vcc_lo
	v_mul_f64_e32 v[0:1], s[0:1], v[4:5]
	s_delay_alu instid0(VALU_DEP_3) | instskip(SKIP_1) | instid1(VALU_DEP_3)
	v_add_co_u32 v4, vcc_lo, v125, s6
	s_wait_alu 0xfffd
	v_add_co_ci_u32_e32 v5, vcc_lo, s7, v126, vcc_lo
	global_store_b128 v[125:126], v[0:3], off
	v_mul_f64_e32 v[0:1], s[0:1], v[9:10]
	v_mul_f64_e32 v[2:3], s[0:1], v[11:12]
	;; [unrolled: 1-line block ×3, first 2 shown]
	global_store_b128 v[4:5], v[0:3], off
	v_mul_f64_e32 v[0:1], s[0:1], v[13:14]
	v_mul_f64_e32 v[2:3], s[0:1], v[15:16]
	v_add_co_u32 v4, vcc_lo, v4, s6
	s_wait_alu 0xfffd
	v_add_co_ci_u32_e32 v5, vcc_lo, s7, v5, vcc_lo
	s_delay_alu instid0(VALU_DEP_2) | instskip(SKIP_1) | instid1(VALU_DEP_2)
	v_add_co_u32 v8, vcc_lo, v4, s2
	s_wait_alu 0xfffd
	v_add_co_ci_u32_e32 v9, vcc_lo, s3, v5, vcc_lo
	s_delay_alu instid0(VALU_DEP_2) | instskip(SKIP_1) | instid1(VALU_DEP_2)
	;; [unrolled: 4-line block ×3, first 2 shown]
	v_add_co_u32 v14, vcc_lo, v12, s6
	s_wait_alu 0xfffd
	v_add_co_ci_u32_e32 v15, vcc_lo, s7, v13, vcc_lo
	global_store_b128 v[4:5], v[0:3], off
	v_mul_f64_e32 v[0:1], s[0:1], v[17:18]
	v_mul_f64_e32 v[2:3], s[0:1], v[19:20]
	;; [unrolled: 1-line block ×4, first 2 shown]
	global_store_b128 v[8:9], v[0:3], off
	v_mul_f64_e32 v[0:1], s[0:1], v[21:22]
	v_mul_f64_e32 v[2:3], s[0:1], v[23:24]
	;; [unrolled: 1-line block ×13, first 2 shown]
	global_store_b128 v[12:13], v[0:3], off
	v_mul_f64_e32 v[0:1], s[0:1], v[33:34]
	v_mul_f64_e32 v[2:3], s[0:1], v[35:36]
	v_add_co_u32 v12, vcc_lo, v14, s2
	s_wait_alu 0xfffd
	v_add_co_ci_u32_e32 v13, vcc_lo, s3, v15, vcc_lo
	global_store_b128 v[14:15], v[4:7], off
	v_add_co_u32 v16, vcc_lo, v12, s6
	s_wait_alu 0xfffd
	v_add_co_ci_u32_e32 v17, vcc_lo, s7, v13, vcc_lo
	v_mul_f64_e32 v[4:5], s[0:1], v[37:38]
	v_mul_f64_e32 v[6:7], s[0:1], v[39:40]
	v_add_co_u32 v18, vcc_lo, v16, s6
	s_wait_alu 0xfffd
	v_add_co_ci_u32_e32 v19, vcc_lo, s7, v17, vcc_lo
	global_store_b128 v[12:13], v[8:11], off
	v_add_co_u32 v125, vcc_lo, v18, s2
	s_wait_alu 0xfffd
	v_add_co_ci_u32_e32 v126, vcc_lo, s3, v19, vcc_lo
	v_mul_f64_e32 v[8:9], s[0:1], v[49:50]
	s_delay_alu instid0(VALU_DEP_3) | instskip(SKIP_1) | instid1(VALU_DEP_3)
	v_add_co_u32 v127, vcc_lo, v125, s6
	s_wait_alu 0xfffd
	v_add_co_ci_u32_e32 v128, vcc_lo, s7, v126, vcc_lo
	v_mul_f64_e32 v[10:11], s[0:1], v[51:52]
	s_delay_alu instid0(VALU_DEP_3) | instskip(SKIP_1) | instid1(VALU_DEP_3)
	;; [unrolled: 5-line block ×3, first 2 shown]
	v_add_co_u32 v131, vcc_lo, v129, s2
	s_wait_alu 0xfffd
	v_add_co_ci_u32_e32 v132, vcc_lo, s3, v130, vcc_lo
	v_mul_f64_e32 v[14:15], s[0:1], v[55:56]
	s_delay_alu instid0(VALU_DEP_3)
	v_add_co_u32 v133, vcc_lo, v131, s6
	global_store_b128 v[16:17], v[0:3], off
	v_mul_f64_e32 v[0:1], s[0:1], v[41:42]
	v_mul_f64_e32 v[2:3], s[0:1], v[43:44]
	s_wait_alu 0xfffd
	v_add_co_ci_u32_e32 v134, vcc_lo, s7, v132, vcc_lo
	v_add_co_u32 v135, vcc_lo, v133, s6
	v_mul_f64_e32 v[16:17], s[0:1], v[57:58]
	s_wait_alu 0xfffd
	s_delay_alu instid0(VALU_DEP_3) | instskip(NEXT) | instid1(VALU_DEP_3)
	v_add_co_ci_u32_e32 v136, vcc_lo, s7, v134, vcc_lo
	v_add_co_u32 v137, vcc_lo, v135, s2
	global_store_b128 v[18:19], v[4:7], off
	s_wait_alu 0xfffd
	v_add_co_ci_u32_e32 v138, vcc_lo, s3, v136, vcc_lo
	v_mul_f64_e32 v[4:5], s[0:1], v[45:46]
	v_mul_f64_e32 v[6:7], s[0:1], v[47:48]
	v_add_co_u32 v139, vcc_lo, v137, s6
	v_mul_f64_e32 v[18:19], s[0:1], v[59:60]
	s_wait_alu 0xfffd
	v_add_co_ci_u32_e32 v140, vcc_lo, s7, v138, vcc_lo
	v_mul_f64_e32 v[32:33], s[0:1], v[73:74]
	v_mul_f64_e32 v[34:35], s[0:1], v[75:76]
	v_add_co_u32 v141, vcc_lo, v139, s6
	v_mul_f64_e32 v[36:37], s[0:1], v[77:78]
	v_mul_f64_e32 v[38:39], s[0:1], v[79:80]
	s_wait_alu 0xfffd
	v_add_co_ci_u32_e32 v142, vcc_lo, s7, v140, vcc_lo
	v_add_co_u32 v143, vcc_lo, v141, s2
	v_mul_f64_e32 v[40:41], s[0:1], v[85:86]
	s_wait_alu 0xfffd
	s_delay_alu instid0(VALU_DEP_3) | instskip(NEXT) | instid1(VALU_DEP_3)
	v_add_co_ci_u32_e32 v144, vcc_lo, s3, v142, vcc_lo
	v_add_co_u32 v145, vcc_lo, v143, s6
	v_mul_f64_e32 v[42:43], s[0:1], v[87:88]
	s_wait_alu 0xfffd
	s_delay_alu instid0(VALU_DEP_3)
	v_add_co_ci_u32_e32 v146, vcc_lo, s7, v144, vcc_lo
	global_store_b128 v[125:126], v[0:3], off
	v_mul_f64_e32 v[0:1], s[0:1], v[81:82]
	v_mul_f64_e32 v[2:3], s[0:1], v[83:84]
	v_add_co_u32 v147, vcc_lo, v145, s6
	s_wait_alu 0xfffd
	v_add_co_ci_u32_e32 v148, vcc_lo, s7, v146, vcc_lo
	v_mul_f64_e32 v[44:45], s[0:1], v[89:90]
	v_mul_f64_e32 v[46:47], s[0:1], v[91:92]
	;; [unrolled: 1-line block ×6, first 2 shown]
	v_add_co_u32 v125, vcc_lo, v147, s2
	s_wait_alu 0xfffd
	v_add_co_ci_u32_e32 v126, vcc_lo, s3, v148, vcc_lo
	v_mul_f64_e32 v[56:57], s[0:1], v[101:102]
	v_mul_f64_e32 v[58:59], s[0:1], v[103:104]
	v_add_co_u32 v80, vcc_lo, v125, s6
	v_mul_f64_e32 v[60:61], s[0:1], v[105:106]
	s_wait_alu 0xfffd
	v_add_co_ci_u32_e32 v81, vcc_lo, s7, v126, vcc_lo
	v_mul_f64_e32 v[72:73], s[0:1], v[117:118]
	v_mul_f64_e32 v[74:75], s[0:1], v[119:120]
	v_mul_f64_e32 v[76:77], s[0:1], v[121:122]
	v_mul_f64_e32 v[78:79], s[0:1], v[123:124]
	global_store_b128 v[127:128], v[4:7], off
	global_store_b128 v[129:130], v[8:11], off
	global_store_b128 v[131:132], v[12:15], off
	global_store_b128 v[133:134], v[16:19], off
	global_store_b128 v[135:136], v[20:23], off
	global_store_b128 v[137:138], v[24:27], off
	global_store_b128 v[139:140], v[28:31], off
	global_store_b128 v[141:142], v[32:35], off
	global_store_b128 v[143:144], v[36:39], off
	v_add_co_u32 v4, vcc_lo, v80, s6
	s_wait_alu 0xfffd
	v_add_co_ci_u32_e32 v5, vcc_lo, s7, v81, vcc_lo
	global_store_b128 v[145:146], v[0:3], off
	v_add_co_u32 v0, vcc_lo, v4, s2
	s_wait_alu 0xfffd
	v_add_co_ci_u32_e32 v1, vcc_lo, s3, v5, vcc_lo
	global_store_b128 v[147:148], v[40:43], off
	;; [unrolled: 4-line block ×7, first 2 shown]
	global_store_b128 v[6:7], v[64:67], off
	global_store_b128 v[8:9], v[68:71], off
	;; [unrolled: 1-line block ×4, first 2 shown]
.LBB0_2:
	s_nop 0
	s_sendmsg sendmsg(MSG_DEALLOC_VGPRS)
	s_endpgm
	.section	.rodata,"a",@progbits
	.p2align	6, 0x0
	.amdhsa_kernel bluestein_single_back_len3240_dim1_dp_op_CI_CI
		.amdhsa_group_segment_fixed_size 51840
		.amdhsa_private_segment_fixed_size 1820
		.amdhsa_kernarg_size 104
		.amdhsa_user_sgpr_count 2
		.amdhsa_user_sgpr_dispatch_ptr 0
		.amdhsa_user_sgpr_queue_ptr 0
		.amdhsa_user_sgpr_kernarg_segment_ptr 1
		.amdhsa_user_sgpr_dispatch_id 0
		.amdhsa_user_sgpr_private_segment_size 0
		.amdhsa_wavefront_size32 1
		.amdhsa_uses_dynamic_stack 0
		.amdhsa_enable_private_segment 1
		.amdhsa_system_sgpr_workgroup_id_x 1
		.amdhsa_system_sgpr_workgroup_id_y 0
		.amdhsa_system_sgpr_workgroup_id_z 0
		.amdhsa_system_sgpr_workgroup_info 0
		.amdhsa_system_vgpr_workitem_id 0
		.amdhsa_next_free_vgpr 256
		.amdhsa_next_free_sgpr 34
		.amdhsa_reserve_vcc 1
		.amdhsa_float_round_mode_32 0
		.amdhsa_float_round_mode_16_64 0
		.amdhsa_float_denorm_mode_32 3
		.amdhsa_float_denorm_mode_16_64 3
		.amdhsa_fp16_overflow 0
		.amdhsa_workgroup_processor_mode 1
		.amdhsa_memory_ordered 1
		.amdhsa_forward_progress 0
		.amdhsa_round_robin_scheduling 0
		.amdhsa_exception_fp_ieee_invalid_op 0
		.amdhsa_exception_fp_denorm_src 0
		.amdhsa_exception_fp_ieee_div_zero 0
		.amdhsa_exception_fp_ieee_overflow 0
		.amdhsa_exception_fp_ieee_underflow 0
		.amdhsa_exception_fp_ieee_inexact 0
		.amdhsa_exception_int_div_zero 0
	.end_amdhsa_kernel
	.text
.Lfunc_end0:
	.size	bluestein_single_back_len3240_dim1_dp_op_CI_CI, .Lfunc_end0-bluestein_single_back_len3240_dim1_dp_op_CI_CI
                                        ; -- End function
	.section	.AMDGPU.csdata,"",@progbits
; Kernel info:
; codeLenInByte = 42488
; NumSgprs: 36
; NumVgprs: 256
; ScratchSize: 1820
; MemoryBound: 0
; FloatMode: 240
; IeeeMode: 1
; LDSByteSize: 51840 bytes/workgroup (compile time only)
; SGPRBlocks: 4
; VGPRBlocks: 31
; NumSGPRsForWavesPerEU: 36
; NumVGPRsForWavesPerEU: 256
; Occupancy: 2
; WaveLimiterHint : 1
; COMPUTE_PGM_RSRC2:SCRATCH_EN: 1
; COMPUTE_PGM_RSRC2:USER_SGPR: 2
; COMPUTE_PGM_RSRC2:TRAP_HANDLER: 0
; COMPUTE_PGM_RSRC2:TGID_X_EN: 1
; COMPUTE_PGM_RSRC2:TGID_Y_EN: 0
; COMPUTE_PGM_RSRC2:TGID_Z_EN: 0
; COMPUTE_PGM_RSRC2:TIDIG_COMP_CNT: 0
	.text
	.p2alignl 7, 3214868480
	.fill 96, 4, 3214868480
	.type	__hip_cuid_16ef58954210a175,@object ; @__hip_cuid_16ef58954210a175
	.section	.bss,"aw",@nobits
	.globl	__hip_cuid_16ef58954210a175
__hip_cuid_16ef58954210a175:
	.byte	0                               ; 0x0
	.size	__hip_cuid_16ef58954210a175, 1

	.ident	"AMD clang version 19.0.0git (https://github.com/RadeonOpenCompute/llvm-project roc-6.4.0 25133 c7fe45cf4b819c5991fe208aaa96edf142730f1d)"
	.section	".note.GNU-stack","",@progbits
	.addrsig
	.addrsig_sym __hip_cuid_16ef58954210a175
	.amdgpu_metadata
---
amdhsa.kernels:
  - .args:
      - .actual_access:  read_only
        .address_space:  global
        .offset:         0
        .size:           8
        .value_kind:     global_buffer
      - .actual_access:  read_only
        .address_space:  global
        .offset:         8
        .size:           8
        .value_kind:     global_buffer
      - .actual_access:  read_only
        .address_space:  global
        .offset:         16
        .size:           8
        .value_kind:     global_buffer
      - .actual_access:  read_only
        .address_space:  global
        .offset:         24
        .size:           8
        .value_kind:     global_buffer
      - .actual_access:  read_only
        .address_space:  global
        .offset:         32
        .size:           8
        .value_kind:     global_buffer
      - .offset:         40
        .size:           8
        .value_kind:     by_value
      - .address_space:  global
        .offset:         48
        .size:           8
        .value_kind:     global_buffer
      - .address_space:  global
        .offset:         56
        .size:           8
        .value_kind:     global_buffer
      - .address_space:  global
        .offset:         64
        .size:           8
        .value_kind:     global_buffer
      - .address_space:  global
        .offset:         72
        .size:           8
        .value_kind:     global_buffer
      - .offset:         80
        .size:           4
        .value_kind:     by_value
      - .address_space:  global
        .offset:         88
        .size:           8
        .value_kind:     global_buffer
      - .address_space:  global
        .offset:         96
        .size:           8
        .value_kind:     global_buffer
    .group_segment_fixed_size: 51840
    .kernarg_segment_align: 8
    .kernarg_segment_size: 104
    .language:       OpenCL C
    .language_version:
      - 2
      - 0
    .max_flat_workgroup_size: 108
    .name:           bluestein_single_back_len3240_dim1_dp_op_CI_CI
    .private_segment_fixed_size: 1820
    .sgpr_count:     36
    .sgpr_spill_count: 0
    .symbol:         bluestein_single_back_len3240_dim1_dp_op_CI_CI.kd
    .uniform_work_group_size: 1
    .uses_dynamic_stack: false
    .vgpr_count:     256
    .vgpr_spill_count: 454
    .wavefront_size: 32
    .workgroup_processor_mode: 1
amdhsa.target:   amdgcn-amd-amdhsa--gfx1201
amdhsa.version:
  - 1
  - 2
...

	.end_amdgpu_metadata
